;; amdgpu-corpus repo=ROCm/rocFFT kind=compiled arch=gfx1030 opt=O3
	.text
	.amdgcn_target "amdgcn-amd-amdhsa--gfx1030"
	.amdhsa_code_object_version 6
	.protected	bluestein_single_back_len1911_dim1_sp_op_CI_CI ; -- Begin function bluestein_single_back_len1911_dim1_sp_op_CI_CI
	.globl	bluestein_single_back_len1911_dim1_sp_op_CI_CI
	.p2align	8
	.type	bluestein_single_back_len1911_dim1_sp_op_CI_CI,@function
bluestein_single_back_len1911_dim1_sp_op_CI_CI: ; @bluestein_single_back_len1911_dim1_sp_op_CI_CI
; %bb.0:
	s_load_dwordx4 s[12:15], s[4:5], 0x28
	v_mul_u32_u24_e32 v1, 0x2d1, v0
	v_mov_b32_e32 v161, 0
	s_mov_b32 s0, exec_lo
	v_lshrrev_b32_e32 v1, 16, v1
	v_add_nc_u32_e32 v160, s6, v1
	s_waitcnt lgkmcnt(0)
	v_cmpx_gt_u64_e64 s[12:13], v[160:161]
	s_cbranch_execz .LBB0_15
; %bb.1:
	s_clause 0x1
	s_load_dwordx4 s[8:11], s[4:5], 0x18
	s_load_dwordx2 s[6:7], s[4:5], 0x0
	v_mul_lo_u16 v1, 0x5b, v1
	v_sub_nc_u16 v36, v0, v1
	v_and_b32_e32 v188, 0xffff, v36
	v_lshlrev_b32_e32 v187, 3, v188
	s_waitcnt lgkmcnt(0)
	s_load_dwordx4 s[0:3], s[8:9], 0x0
	s_clause 0x1
	global_load_dwordx2 v[171:172], v187, s[6:7]
	global_load_dwordx2 v[167:168], v187, s[6:7] offset:1176
	v_add_co_u32 v150, s8, s6, v187
	v_add_co_ci_u32_e64 v151, null, s7, 0, s8
	v_add_co_u32 v152, vcc_lo, 0x800, v150
	v_add_co_ci_u32_e32 v153, vcc_lo, 0, v151, vcc_lo
	v_add_co_u32 v148, vcc_lo, 0x1000, v150
	v_add_co_ci_u32_e32 v149, vcc_lo, 0, v151, vcc_lo
	;; [unrolled: 2-line block ×3, first 2 shown]
	s_waitcnt lgkmcnt(0)
	v_mad_u64_u32 v[0:1], null, s2, v160, 0
	v_mad_u64_u32 v[2:3], null, s0, v188, 0
	v_add_co_u32 v142, vcc_lo, 0x2000, v150
	v_add_co_ci_u32_e32 v143, vcc_lo, 0, v151, vcc_lo
	v_add_co_u32 v144, vcc_lo, 0x2800, v150
	v_mad_u64_u32 v[4:5], null, s3, v160, v[1:2]
	v_add_co_ci_u32_e32 v145, vcc_lo, 0, v151, vcc_lo
	v_add_co_u32 v140, vcc_lo, 0x3000, v150
	v_add_co_ci_u32_e32 v141, vcc_lo, 0, v151, vcc_lo
	v_mad_u64_u32 v[5:6], null, s1, v188, v[3:4]
	v_mov_b32_e32 v1, v4
	s_mul_i32 s3, s1, 0x93
	s_mul_hi_u32 s6, s0, 0x93
	s_mul_i32 s2, s0, 0x93
	s_add_i32 s3, s6, s3
	v_lshlrev_b64 v[0:1], 3, v[0:1]
	v_mov_b32_e32 v3, v5
	s_lshl_b64 s[6:7], s[2:3], 3
	s_clause 0x8
	global_load_dwordx2 v[179:180], v[152:153], off offset:304
	global_load_dwordx2 v[177:178], v[152:153], off offset:1480
	;; [unrolled: 1-line block ×9, first 2 shown]
	v_lshlrev_b64 v[2:3], 3, v[2:3]
	v_add_co_u32 v0, vcc_lo, s14, v0
	v_add_co_ci_u32_e32 v1, vcc_lo, s15, v1, vcc_lo
	v_add_co_u32 v0, vcc_lo, v0, v2
	v_add_co_ci_u32_e32 v1, vcc_lo, v1, v3, vcc_lo
	;; [unrolled: 2-line block ×3, first 2 shown]
	s_clause 0x1
	global_load_dwordx2 v[8:9], v[0:1], off
	global_load_dwordx2 v[10:11], v[2:3], off
	v_add_co_u32 v4, vcc_lo, v2, s6
	v_add_co_ci_u32_e32 v5, vcc_lo, s7, v3, vcc_lo
	v_add_co_u32 v6, vcc_lo, v4, s6
	v_add_co_ci_u32_e32 v7, vcc_lo, s7, v5, vcc_lo
	s_clause 0x1
	global_load_dwordx2 v[12:13], v[4:5], off
	global_load_dwordx2 v[14:15], v[6:7], off
	v_add_co_u32 v0, vcc_lo, v6, s6
	v_add_co_ci_u32_e32 v1, vcc_lo, s7, v7, vcc_lo
	v_add_nc_u32_e32 v5, 0x800, v187
	v_add_co_u32 v2, vcc_lo, v0, s6
	v_add_co_ci_u32_e32 v3, vcc_lo, s7, v1, vcc_lo
	global_load_dwordx2 v[16:17], v[0:1], off
	v_add_co_u32 v0, vcc_lo, v2, s6
	v_add_co_ci_u32_e32 v1, vcc_lo, s7, v3, vcc_lo
	global_load_dwordx2 v[18:19], v[2:3], off
	;; [unrolled: 3-line block ×8, first 2 shown]
	s_clause 0x1
	global_load_dwordx2 v[161:162], v[140:141], off offset:648
	global_load_dwordx2 v[163:164], v[140:141], off offset:1824
	global_load_dwordx2 v[32:33], v[0:1], off
	s_load_dwordx2 s[2:3], s[4:5], 0x38
	s_load_dwordx4 s[8:11], s[10:11], 0x0
	v_add_nc_u32_e32 v3, 0x1000, v187
	v_add_nc_u32_e32 v2, 0x1a00, v187
	;; [unrolled: 1-line block ×3, first 2 shown]
	v_cmp_gt_u16_e32 vcc_lo, 56, v36
	s_waitcnt vmcnt(14)
	v_mul_f32_e32 v7, v9, v172
	v_mul_f32_e32 v6, v8, v172
	s_waitcnt vmcnt(13)
	v_mul_f32_e32 v34, v11, v168
	v_mul_f32_e32 v35, v10, v168
	v_fmac_f32_e32 v7, v8, v171
	v_fma_f32 v8, v9, v171, -v6
	v_fmac_f32_e32 v34, v10, v167
	v_fma_f32 v35, v11, v167, -v35
	v_add_nc_u32_e32 v6, 0x2c00, v187
	s_waitcnt vmcnt(12)
	v_mul_f32_e32 v10, v12, v180
	s_waitcnt vmcnt(11)
	v_mul_f32_e32 v11, v15, v178
	v_mul_f32_e32 v9, v13, v180
	ds_write2_b64 v187, v[7:8], v[34:35] offset1:147
	v_mul_f32_e32 v8, v14, v178
	v_fma_f32 v10, v13, v179, -v10
	v_fmac_f32_e32 v11, v14, v177
	v_fmac_f32_e32 v9, v12, v179
	v_fma_f32 v12, v15, v177, -v8
	s_waitcnt vmcnt(10)
	v_mul_f32_e32 v7, v17, v176
	v_mul_f32_e32 v14, v16, v176
	ds_write2_b64 v5, v[9:10], v[11:12] offset0:38 offset1:185
	s_waitcnt vmcnt(9)
	v_mul_f32_e32 v13, v19, v170
	v_mul_f32_e32 v34, v18, v170
	v_fmac_f32_e32 v7, v16, v175
	v_fma_f32 v8, v17, v175, -v14
	v_fmac_f32_e32 v13, v18, v169
	v_fma_f32 v14, v19, v169, -v34
	s_waitcnt vmcnt(8)
	v_mul_f32_e32 v9, v21, v174
	v_mul_f32_e32 v10, v20, v174
	s_waitcnt vmcnt(7)
	v_mul_f32_e32 v11, v23, v166
	ds_write2_b64 v3, v[7:8], v[13:14] offset0:76 offset1:223
	v_mul_f32_e32 v8, v22, v166
	v_fmac_f32_e32 v9, v20, v173
	v_fma_f32 v10, v21, v173, -v10
	s_waitcnt vmcnt(6)
	v_mul_f32_e32 v7, v25, v159
	v_fmac_f32_e32 v11, v22, v165
	v_fma_f32 v12, v23, v165, -v8
	v_mul_f32_e32 v8, v24, v159
	s_waitcnt vmcnt(5)
	v_mul_f32_e32 v13, v27, v157
	v_mul_f32_e32 v14, v26, v157
	v_fmac_f32_e32 v7, v24, v158
	v_fma_f32 v8, v25, v158, -v8
	s_waitcnt vmcnt(4)
	v_mul_f32_e32 v15, v29, v155
	v_mul_f32_e32 v16, v28, v155
	v_fmac_f32_e32 v13, v26, v156
	s_waitcnt vmcnt(2)
	v_mul_f32_e32 v17, v31, v162
	v_mul_f32_e32 v18, v30, v162
	s_waitcnt vmcnt(0)
	v_mul_f32_e32 v19, v33, v164
	v_mul_f32_e32 v20, v32, v164
	v_fma_f32 v14, v27, v156, -v14
	v_fmac_f32_e32 v15, v28, v154
	v_fma_f32 v16, v29, v154, -v16
	v_fmac_f32_e32 v17, v30, v161
	;; [unrolled: 2-line block ×3, first 2 shown]
	v_fma_f32 v20, v33, v163, -v20
	ds_write2_b64 v2, v[9:10], v[11:12] offset0:50 offset1:197
	ds_write2_b64 v4, v[7:8], v[13:14] offset0:24 offset1:171
	;; [unrolled: 1-line block ×3, first 2 shown]
	ds_write_b64 v187, v[19:20] offset:14112
	s_and_saveexec_b32 s12, vcc_lo
	s_cbranch_execz .LBB0_3
; %bb.2:
	v_mad_u64_u32 v[0:1], null, 0xffffcbb8, s0, v[0:1]
	s_mulk_i32 s1, 0xcbb8
	s_clause 0x1
	global_load_dwordx2 v[11:12], v[150:151], off offset:728
	global_load_dwordx2 v[13:14], v[150:151], off offset:1904
	s_sub_i32 s0, s1, s0
	s_clause 0x2
	global_load_dwordx2 v[17:18], v[152:153], off offset:1032
	global_load_dwordx2 v[19:20], v[148:149], off offset:160
	;; [unrolled: 1-line block ×3, first 2 shown]
	v_add_nc_u32_e32 v59, 0xc00, v187
	v_add_nc_u32_e32 v60, 0x1400, v187
	;; [unrolled: 1-line block ×3, first 2 shown]
	v_add_co_u32 v7, s0, v0, s6
	v_add_nc_u32_e32 v61, 0x1c00, v187
	v_add_nc_u32_e32 v62, 0x2600, v187
	v_add_co_ci_u32_e64 v8, s0, s7, v1, s0
	v_add_co_u32 v9, s0, v7, s6
	global_load_dwordx2 v[0:1], v[0:1], off
	v_add_co_ci_u32_e64 v10, s0, s7, v8, s0
	v_add_co_u32 v15, s0, v9, s6
	v_add_nc_u32_e32 v63, 0x3000, v187
	v_add_co_ci_u32_e64 v16, s0, s7, v10, s0
	v_add_co_u32 v23, s0, v15, s6
	v_add_co_ci_u32_e64 v24, s0, s7, v16, s0
	v_add_co_u32 v25, s0, v23, s6
	v_add_co_ci_u32_e64 v26, s0, s7, v24, s0
	global_load_dwordx2 v[7:8], v[7:8], off
	global_load_dwordx2 v[9:10], v[9:10], off
	;; [unrolled: 1-line block ×5, first 2 shown]
	v_add_co_u32 v25, s0, v25, s6
	v_add_co_ci_u32_e64 v26, s0, s7, v26, s0
	global_load_dwordx2 v[29:30], v[146:147], off offset:464
	v_add_co_u32 v31, s0, v25, s6
	v_add_co_ci_u32_e64 v32, s0, s7, v26, s0
	global_load_dwordx2 v[25:26], v[25:26], off
	v_add_co_u32 v33, s0, v31, s6
	v_add_co_ci_u32_e64 v34, s0, s7, v32, s0
	global_load_dwordx2 v[31:32], v[31:32], off
	;; [unrolled: 3-line block ×3, first 2 shown]
	v_add_co_u32 v37, s0, v35, s6
	v_add_co_ci_u32_e64 v38, s0, s7, v36, s0
	s_clause 0x2
	global_load_dwordx2 v[39:40], v[146:147], off offset:1640
	global_load_dwordx2 v[41:42], v[142:143], off offset:768
	;; [unrolled: 1-line block ×3, first 2 shown]
	global_load_dwordx2 v[35:36], v[35:36], off
	global_load_dwordx2 v[45:46], v[37:38], off
	s_clause 0x1
	global_load_dwordx2 v[47:48], v[144:145], off offset:1072
	global_load_dwordx2 v[49:50], v[140:141], off offset:200
	v_add_co_u32 v37, s0, v37, s6
	v_add_co_ci_u32_e64 v38, s0, s7, v38, s0
	v_add_co_u32 v51, s0, 0x3800, v150
	v_add_co_ci_u32_e64 v52, s0, 0, v151, s0
	;; [unrolled: 2-line block ×3, first 2 shown]
	global_load_dwordx2 v[37:38], v[37:38], off
	s_clause 0x1
	global_load_dwordx2 v[55:56], v[140:141], off offset:1376
	global_load_dwordx2 v[51:52], v[51:52], off offset:504
	global_load_dwordx2 v[53:54], v[53:54], off
	s_waitcnt vmcnt(20)
	v_mul_f32_e32 v57, v1, v12
	v_mul_f32_e32 v58, v0, v12
	v_fmac_f32_e32 v57, v0, v11
	v_fma_f32 v58, v1, v11, -v58
	s_waitcnt vmcnt(19)
	v_mul_f32_e32 v12, v8, v14
	v_mul_f32_e32 v1, v7, v14
	s_waitcnt vmcnt(18)
	v_mul_f32_e32 v0, v10, v18
	v_mul_f32_e32 v11, v9, v18
	s_waitcnt vmcnt(17)
	v_mul_f32_e32 v14, v15, v20
	v_fmac_f32_e32 v12, v7, v13
	v_mul_f32_e32 v7, v16, v20
	v_fma_f32 v13, v8, v13, -v1
	v_fmac_f32_e32 v0, v9, v17
	v_fma_f32 v1, v10, v17, -v11
	v_fma_f32 v8, v16, v19, -v14
	v_fmac_f32_e32 v7, v15, v19
	s_waitcnt vmcnt(16)
	v_mul_f32_e32 v9, v24, v22
	v_mul_f32_e32 v10, v23, v22
	s_waitcnt vmcnt(14)
	v_mul_f32_e32 v11, v28, v30
	ds_write2_b64 v187, v[57:58], v[12:13] offset0:91 offset1:238
	ds_write2_b64 v59, v[0:1], v[7:8] offset0:1 offset1:148
	v_mul_f32_e32 v1, v27, v30
	v_fmac_f32_e32 v9, v23, v21
	v_fma_f32 v10, v24, v21, -v10
	v_fmac_f32_e32 v11, v27, v29
	v_fma_f32 v12, v28, v29, -v1
	s_waitcnt vmcnt(10)
	v_mul_f32_e32 v8, v25, v40
	s_waitcnt vmcnt(9)
	v_mul_f32_e32 v14, v31, v42
	v_mul_f32_e32 v0, v26, v40
	;; [unrolled: 1-line block ×3, first 2 shown]
	s_waitcnt vmcnt(8)
	v_mul_f32_e32 v13, v34, v44
	v_fma_f32 v1, v26, v39, -v8
	v_fma_f32 v8, v32, v41, -v14
	v_mul_f32_e32 v14, v33, v44
	s_waitcnt vmcnt(5)
	v_mul_f32_e32 v15, v36, v48
	v_mul_f32_e32 v16, v35, v48
	s_waitcnt vmcnt(4)
	v_mul_f32_e32 v17, v46, v50
	v_mul_f32_e32 v18, v45, v50
	v_fmac_f32_e32 v0, v25, v39
	v_fmac_f32_e32 v7, v31, v41
	;; [unrolled: 1-line block ×3, first 2 shown]
	v_fma_f32 v14, v34, v43, -v14
	v_fmac_f32_e32 v15, v35, v47
	s_waitcnt vmcnt(2)
	v_mul_f32_e32 v19, v38, v56
	v_mul_f32_e32 v20, v37, v56
	s_waitcnt vmcnt(0)
	v_mul_f32_e32 v21, v54, v52
	v_mul_f32_e32 v22, v53, v52
	v_fma_f32 v16, v36, v47, -v16
	v_fmac_f32_e32 v17, v45, v49
	v_fma_f32 v18, v46, v49, -v18
	v_fmac_f32_e32 v19, v37, v55
	;; [unrolled: 2-line block ×3, first 2 shown]
	v_fma_f32 v22, v54, v51, -v22
	ds_write2_b64 v60, v[9:10], v[11:12] offset0:39 offset1:186
	ds_write2_b64 v61, v[0:1], v[7:8] offset0:77 offset1:224
	;; [unrolled: 1-line block ×4, first 2 shown]
	ds_write_b64 v187, v[21:22] offset:14840
.LBB0_3:
	s_or_b32 exec_lo, exec_lo, s12
	s_waitcnt lgkmcnt(0)
	s_barrier
	buffer_gl0_inv
	ds_read2_b64 v[44:47], v187 offset1:147
	ds_read2_b64 v[36:39], v5 offset0:38 offset1:185
	ds_read2_b64 v[28:31], v3 offset0:76 offset1:223
	;; [unrolled: 1-line block ×5, first 2 shown]
	ds_read_b64 v[50:51], v187 offset:14112
	s_load_dwordx2 s[4:5], s[4:5], 0x8
	v_mov_b32_e32 v0, 0
	v_mov_b32_e32 v1, 0
                                        ; implicit-def: $vgpr14
                                        ; implicit-def: $vgpr8
                                        ; implicit-def: $vgpr4
                                        ; implicit-def: $vgpr48
                                        ; implicit-def: $vgpr18
                                        ; implicit-def: $vgpr22
	s_and_saveexec_b32 s0, vcc_lo
	s_cbranch_execz .LBB0_5
; %bb.4:
	v_add_nc_u32_e32 v4, 0xc00, v187
	v_add_nc_u32_e32 v5, 0x1400, v187
	;; [unrolled: 1-line block ×5, first 2 shown]
	ds_read2_b64 v[0:3], v187 offset0:91 offset1:238
	ds_read2_b64 v[20:23], v4 offset0:1 offset1:148
	;; [unrolled: 1-line block ×6, first 2 shown]
	ds_read_b64 v[48:49], v187 offset:14840
.LBB0_5:
	s_or_b32 exec_lo, exec_lo, s0
	s_waitcnt lgkmcnt(0)
	v_add_f32_e32 v52, v44, v46
	v_add_f32_e32 v53, v45, v47
	v_add_co_u32 v68, s0, 0x5b, v188
	v_add_co_ci_u32_e64 v54, null, 0, 0, s0
	v_add_f32_e32 v52, v52, v36
	v_add_f32_e32 v53, v53, v37
	;; [unrolled: 1-line block ×3, first 2 shown]
	v_sub_f32_e32 v55, v47, v51
	v_sub_f32_e32 v56, v46, v50
	v_add_f32_e32 v52, v52, v38
	v_add_f32_e32 v53, v53, v39
	v_add_f32_e32 v57, v51, v47
	v_mul_f32_e32 v60, 0xbf7e222b, v55
	v_sub_f32_e32 v76, v37, v43
	v_add_f32_e32 v46, v52, v28
	v_add_f32_e32 v47, v53, v29
	v_mul_f32_e32 v52, 0xbeedf032, v55
	v_mul_f32_e32 v53, 0xbeedf032, v56
	;; [unrolled: 1-line block ×3, first 2 shown]
	v_add_f32_e32 v46, v46, v30
	v_add_f32_e32 v47, v47, v31
	v_mul_f32_e32 v59, 0xbf52af12, v56
	v_mul_f32_e32 v61, 0xbf7e222b, v56
	;; [unrolled: 1-line block ×3, first 2 shown]
	v_add_f32_e32 v46, v46, v24
	v_add_f32_e32 v47, v47, v25
	v_fma_f32 v63, 0x3f62ad3f, v54, -v52
	v_fma_f32 v67, 0x3df6dbef, v54, -v60
	v_mul_f32_e32 v69, 0xbf6f5d39, v56
	v_add_f32_e32 v46, v46, v26
	v_add_f32_e32 v47, v47, v27
	v_mul_f32_e32 v70, 0xbf29c268, v55
	v_mul_f32_e32 v72, 0xbf29c268, v56
	;; [unrolled: 1-line block ×3, first 2 shown]
	v_add_f32_e32 v46, v46, v32
	v_add_f32_e32 v47, v47, v33
	v_mul_f32_e32 v56, 0xbe750f2a, v56
	v_add_f32_e32 v78, v42, v36
	v_mul_f32_e32 v79, 0xbf52af12, v76
	v_add_f32_e32 v46, v46, v34
	v_add_f32_e32 v47, v47, v35
	v_sub_f32_e32 v36, v36, v42
	v_fmamk_f32 v64, v57, 0x3f62ad3f, v53
	v_fmac_f32_e32 v52, 0x3f62ad3f, v54
	v_add_f32_e32 v46, v46, v40
	v_add_f32_e32 v47, v47, v41
	v_fma_f32 v53, 0x3f62ad3f, v57, -v53
	v_fma_f32 v65, 0x3f116cb1, v54, -v58
	v_fmamk_f32 v66, v57, 0x3f116cb1, v59
	v_add_f32_e32 v46, v46, v42
	v_add_f32_e32 v47, v47, v43
	v_fmac_f32_e32 v58, 0x3f116cb1, v54
	v_fma_f32 v59, 0x3f116cb1, v57, -v59
	v_add_f32_e32 v63, v44, v63
	v_add_f32_e32 v46, v46, v50
	;; [unrolled: 1-line block ×3, first 2 shown]
	v_fmamk_f32 v50, v57, 0x3df6dbef, v61
	v_add_f32_e32 v51, v44, v67
	v_fmac_f32_e32 v60, 0x3df6dbef, v54
	v_fma_f32 v61, 0x3df6dbef, v57, -v61
	v_fma_f32 v67, 0xbeb58ec6, v54, -v62
	v_fmamk_f32 v71, v57, 0xbeb58ec6, v69
	v_fmac_f32_e32 v62, 0xbeb58ec6, v54
	v_fma_f32 v69, 0xbeb58ec6, v57, -v69
	v_fma_f32 v73, 0xbf3f9e67, v54, -v70
	v_fmamk_f32 v74, v57, 0xbf3f9e67, v72
	;; [unrolled: 4-line block ×3, first 2 shown]
	v_fmac_f32_e32 v55, 0xbf788fa5, v54
	v_fma_f32 v42, 0xbf788fa5, v57, -v56
	v_fma_f32 v54, 0x3f116cb1, v78, -v79
	v_add_f32_e32 v37, v43, v37
	v_mul_f32_e32 v43, 0xbf52af12, v36
	v_add_f32_e32 v64, v45, v64
	v_add_f32_e32 v52, v44, v52
	;; [unrolled: 1-line block ×23, first 2 shown]
	v_mul_f32_e32 v54, 0xbf6f5d39, v76
	v_fmamk_f32 v55, v37, 0x3f116cb1, v43
	v_fma_f32 v43, 0x3f116cb1, v37, -v43
	v_mul_f32_e32 v56, 0xbf6f5d39, v36
	v_mul_f32_e32 v63, 0xbe750f2a, v76
	v_fma_f32 v57, 0xbeb58ec6, v78, -v54
	v_add_f32_e32 v55, v55, v64
	v_add_f32_e32 v43, v43, v53
	v_fmamk_f32 v53, v37, 0xbeb58ec6, v56
	v_fmac_f32_e32 v54, 0xbeb58ec6, v78
	v_fma_f32 v56, 0xbeb58ec6, v37, -v56
	v_mul_f32_e32 v64, 0xbe750f2a, v36
	v_add_f32_e32 v57, v57, v65
	v_fma_f32 v65, 0xbf788fa5, v78, -v63
	v_add_f32_e32 v54, v54, v58
	v_add_f32_e32 v56, v56, v59
	v_mul_f32_e32 v58, 0x3f29c268, v76
	v_fmamk_f32 v59, v37, 0xbf788fa5, v64
	v_fma_f32 v64, 0xbf788fa5, v37, -v64
	v_add_f32_e32 v51, v65, v51
	v_fmac_f32_e32 v63, 0xbf788fa5, v78
	v_fma_f32 v65, 0xbf3f9e67, v78, -v58
	v_add_f32_e32 v53, v53, v66
	v_add_f32_e32 v61, v64, v61
	v_mul_f32_e32 v64, 0x3f7e222b, v76
	v_add_f32_e32 v50, v59, v50
	v_mul_f32_e32 v59, 0x3f29c268, v36
	v_add_f32_e32 v60, v63, v60
	v_add_f32_e32 v63, v65, v67
	v_fmac_f32_e32 v58, 0xbf3f9e67, v78
	v_mul_f32_e32 v66, 0x3f7e222b, v36
	v_fma_f32 v67, 0x3df6dbef, v78, -v64
	v_fmac_f32_e32 v64, 0x3df6dbef, v78
	v_fmamk_f32 v65, v37, 0xbf3f9e67, v59
	v_fma_f32 v59, 0xbf3f9e67, v37, -v59
	v_add_f32_e32 v58, v58, v62
	v_fmamk_f32 v62, v37, 0x3df6dbef, v66
	v_fma_f32 v66, 0x3df6dbef, v37, -v66
	v_add_f32_e32 v64, v64, v70
	v_sub_f32_e32 v70, v39, v41
	v_add_f32_e32 v59, v59, v69
	v_mul_f32_e32 v69, 0x3eedf032, v76
	v_add_f32_e32 v62, v62, v74
	v_mul_f32_e32 v36, 0x3eedf032, v36
	v_add_f32_e32 v66, v66, v72
	v_add_f32_e32 v72, v40, v38
	v_mul_f32_e32 v74, 0xbf7e222b, v70
	v_sub_f32_e32 v38, v38, v40
	v_add_f32_e32 v65, v65, v71
	v_add_f32_e32 v67, v67, v73
	v_fma_f32 v71, 0x3f62ad3f, v78, -v69
	v_fmamk_f32 v73, v37, 0x3f62ad3f, v36
	v_fmac_f32_e32 v69, 0x3f62ad3f, v78
	v_fma_f32 v36, 0x3f62ad3f, v37, -v36
	v_fma_f32 v37, 0x3df6dbef, v72, -v74
	v_add_f32_e32 v39, v41, v39
	v_mul_f32_e32 v40, 0xbf7e222b, v38
	v_add_f32_e32 v41, v69, v44
	v_add_f32_e32 v36, v36, v42
	;; [unrolled: 1-line block ×3, first 2 shown]
	v_mul_f32_e32 v42, 0xbe750f2a, v70
	v_fmamk_f32 v44, v39, 0x3df6dbef, v40
	v_fma_f32 v40, 0x3df6dbef, v39, -v40
	v_mul_f32_e32 v45, 0xbe750f2a, v38
	v_fmac_f32_e32 v79, 0x3f116cb1, v78
	v_fma_f32 v69, 0xbf788fa5, v72, -v42
	v_add_f32_e32 v44, v44, v55
	v_add_f32_e32 v40, v40, v43
	v_fmamk_f32 v43, v39, 0xbf788fa5, v45
	v_fmac_f32_e32 v42, 0xbf788fa5, v72
	v_add_f32_e32 v55, v69, v57
	v_mul_f32_e32 v57, 0x3f6f5d39, v70
	v_fma_f32 v45, 0xbf788fa5, v39, -v45
	v_add_f32_e32 v43, v43, v53
	v_mul_f32_e32 v53, 0x3f6f5d39, v38
	v_add_f32_e32 v42, v42, v54
	v_fma_f32 v69, 0xbeb58ec6, v72, -v57
	v_add_f32_e32 v45, v45, v56
	v_mul_f32_e32 v54, 0x3eedf032, v70
	v_fmamk_f32 v56, v39, 0xbeb58ec6, v53
	v_fmac_f32_e32 v57, 0xbeb58ec6, v72
	v_add_f32_e32 v51, v69, v51
	v_fma_f32 v53, 0xbeb58ec6, v39, -v53
	v_fma_f32 v69, 0x3f62ad3f, v72, -v54
	v_add_f32_e32 v50, v56, v50
	v_mul_f32_e32 v56, 0x3eedf032, v38
	v_add_f32_e32 v52, v79, v52
	v_fmac_f32_e32 v74, 0x3df6dbef, v72
	v_add_f32_e32 v57, v57, v60
	v_add_f32_e32 v53, v53, v61
	;; [unrolled: 1-line block ×3, first 2 shown]
	v_mul_f32_e32 v61, 0xbf52af12, v70
	v_fmamk_f32 v63, v39, 0x3f62ad3f, v56
	v_fmac_f32_e32 v54, 0x3f62ad3f, v72
	v_mul_f32_e32 v69, 0xbf52af12, v38
	v_add_f32_e32 v52, v74, v52
	v_fma_f32 v56, 0x3f62ad3f, v39, -v56
	v_fma_f32 v74, 0x3f116cb1, v72, -v61
	v_add_f32_e32 v63, v63, v65
	v_add_f32_e32 v54, v54, v58
	v_fmamk_f32 v58, v39, 0x3f116cb1, v69
	v_mul_f32_e32 v65, 0xbf29c268, v70
	v_fmac_f32_e32 v61, 0x3f116cb1, v72
	v_add_f32_e32 v71, v71, v75
	v_add_f32_e32 v56, v56, v59
	;; [unrolled: 1-line block ×4, first 2 shown]
	v_fma_f32 v62, 0x3f116cb1, v39, -v69
	v_fma_f32 v67, 0xbf3f9e67, v72, -v65
	v_add_f32_e32 v61, v61, v64
	v_sub_f32_e32 v64, v29, v35
	v_mul_f32_e32 v38, 0xbf29c268, v38
	v_add_f32_e32 v62, v62, v66
	v_add_f32_e32 v66, v67, v71
	;; [unrolled: 1-line block ×3, first 2 shown]
	v_mul_f32_e32 v70, 0xbf6f5d39, v64
	v_sub_f32_e32 v28, v28, v34
	v_fmamk_f32 v69, v39, 0xbf3f9e67, v38
	v_fmac_f32_e32 v65, 0xbf3f9e67, v72
	v_fma_f32 v34, 0xbf3f9e67, v39, -v38
	v_fma_f32 v38, 0xbeb58ec6, v67, -v70
	v_add_f32_e32 v29, v35, v29
	v_mul_f32_e32 v35, 0xbf6f5d39, v28
	v_add_f32_e32 v39, v65, v41
	v_add_f32_e32 v34, v34, v36
	;; [unrolled: 1-line block ×3, first 2 shown]
	v_mul_f32_e32 v37, 0x3f29c268, v64
	v_fmamk_f32 v38, v29, 0xbeb58ec6, v35
	v_fma_f32 v35, 0xbeb58ec6, v29, -v35
	v_mul_f32_e32 v41, 0x3f29c268, v28
	v_fmac_f32_e32 v70, 0xbeb58ec6, v67
	v_fma_f32 v65, 0xbf3f9e67, v67, -v37
	v_add_f32_e32 v38, v38, v44
	v_add_f32_e32 v35, v35, v40
	v_fmamk_f32 v40, v29, 0xbf3f9e67, v41
	v_add_f32_e32 v44, v70, v52
	v_add_f32_e32 v52, v65, v55
	v_mul_f32_e32 v55, 0x3eedf032, v64
	v_fmac_f32_e32 v37, 0xbf3f9e67, v67
	v_fma_f32 v41, 0xbf3f9e67, v29, -v41
	v_add_f32_e32 v40, v40, v43
	v_mul_f32_e32 v43, 0x3eedf032, v28
	v_fma_f32 v65, 0x3f62ad3f, v67, -v55
	v_add_f32_e32 v37, v37, v42
	v_add_f32_e32 v41, v41, v45
	v_mul_f32_e32 v42, 0xbf7e222b, v64
	v_fmamk_f32 v45, v29, 0x3f62ad3f, v43
	v_fmac_f32_e32 v55, 0x3f62ad3f, v67
	v_add_f32_e32 v51, v65, v51
	v_fma_f32 v43, 0x3f62ad3f, v29, -v43
	v_fma_f32 v65, 0x3df6dbef, v67, -v42
	v_add_f32_e32 v45, v45, v50
	v_mul_f32_e32 v50, 0xbf7e222b, v28
	v_add_f32_e32 v55, v55, v57
	v_mul_f32_e32 v57, 0x3e750f2a, v64
	v_add_f32_e32 v43, v43, v53
	v_add_f32_e32 v53, v65, v60
	v_fmamk_f32 v60, v29, 0x3df6dbef, v50
	v_fmac_f32_e32 v42, 0x3df6dbef, v67
	v_fma_f32 v50, 0x3df6dbef, v29, -v50
	v_mul_f32_e32 v65, 0x3e750f2a, v28
	v_fma_f32 v70, 0xbf788fa5, v67, -v57
	v_add_f32_e32 v73, v73, v77
	v_add_f32_e32 v42, v42, v54
	;; [unrolled: 1-line block ×3, first 2 shown]
	v_fmamk_f32 v54, v29, 0xbf788fa5, v65
	v_add_f32_e32 v56, v70, v59
	v_mul_f32_e32 v59, 0x3f52af12, v64
	v_mul_f32_e32 v28, 0x3f52af12, v28
	v_fmac_f32_e32 v57, 0xbf788fa5, v67
	v_add_f32_e32 v69, v69, v73
	v_add_f32_e32 v60, v60, v63
	;; [unrolled: 1-line block ×3, first 2 shown]
	v_fma_f32 v58, 0xbf788fa5, v29, -v65
	v_fma_f32 v63, 0x3f116cb1, v67, -v59
	v_fmamk_f32 v64, v29, 0x3f116cb1, v28
	v_add_f32_e32 v57, v57, v61
	v_sub_f32_e32 v61, v31, v33
	v_add_f32_e32 v58, v58, v62
	v_add_f32_e32 v62, v63, v66
	;; [unrolled: 1-line block ×4, first 2 shown]
	v_mul_f32_e32 v65, 0xbf29c268, v61
	v_sub_f32_e32 v30, v30, v32
	v_fma_f32 v28, 0x3f116cb1, v29, -v28
	v_fmac_f32_e32 v59, 0x3f116cb1, v67
	v_add_f32_e32 v29, v33, v31
	v_fma_f32 v31, 0xbf3f9e67, v64, -v65
	v_mul_f32_e32 v32, 0xbf29c268, v30
	v_add_f32_e32 v28, v28, v34
	v_mul_f32_e32 v34, 0x3f7e222b, v61
	v_add_f32_e32 v33, v59, v39
	v_add_f32_e32 v31, v31, v36
	v_fmamk_f32 v36, v29, 0xbf3f9e67, v32
	v_fmac_f32_e32 v65, 0xbf3f9e67, v64
	v_fma_f32 v32, 0xbf3f9e67, v29, -v32
	v_fma_f32 v39, 0x3df6dbef, v64, -v34
	v_mul_f32_e32 v59, 0x3f7e222b, v30
	v_add_f32_e32 v36, v36, v38
	v_add_f32_e32 v38, v65, v44
	;; [unrolled: 1-line block ×4, first 2 shown]
	v_fmamk_f32 v39, v29, 0x3df6dbef, v59
	v_mul_f32_e32 v44, 0xbf52af12, v61
	v_fmac_f32_e32 v34, 0x3df6dbef, v64
	v_fma_f32 v52, 0x3df6dbef, v29, -v59
	v_mul_f32_e32 v59, 0xbf52af12, v30
	v_add_f32_e32 v39, v39, v40
	v_fma_f32 v40, 0x3f116cb1, v64, -v44
	v_add_f32_e32 v34, v34, v37
	v_add_f32_e32 v37, v52, v41
	v_fmamk_f32 v41, v29, 0x3f116cb1, v59
	v_mul_f32_e32 v52, 0x3e750f2a, v61
	v_add_f32_e32 v40, v40, v51
	v_fma_f32 v51, 0x3f116cb1, v29, -v59
	v_fmac_f32_e32 v44, 0x3f116cb1, v64
	v_add_f32_e32 v41, v41, v45
	v_fma_f32 v45, 0xbf788fa5, v64, -v52
	v_mul_f32_e32 v59, 0x3e750f2a, v30
	v_add_f32_e32 v43, v51, v43
	v_mul_f32_e32 v51, 0x3eedf032, v61
	v_add_f32_e32 v44, v44, v55
	v_add_f32_e32 v45, v45, v53
	v_fmamk_f32 v53, v29, 0xbf788fa5, v59
	v_fmac_f32_e32 v52, 0xbf788fa5, v64
	v_fma_f32 v55, 0xbf788fa5, v29, -v59
	v_fma_f32 v59, 0x3f62ad3f, v64, -v51
	v_mul_f32_e32 v65, 0x3eedf032, v30
	v_mul_f32_e32 v30, 0xbf6f5d39, v30
	v_add_f32_e32 v42, v52, v42
	v_fmac_f32_e32 v51, 0x3f62ad3f, v64
	v_add_f32_e32 v52, v59, v56
	v_fma_f32 v59, 0x3f62ad3f, v29, -v65
	v_add_f32_e32 v53, v53, v60
	v_fmamk_f32 v60, v29, 0xbeb58ec6, v30
	v_add_f32_e32 v51, v51, v57
	v_add_f32_e32 v50, v55, v50
	;; [unrolled: 1-line block ×3, first 2 shown]
	v_sub_f32_e32 v58, v25, v27
	v_fmamk_f32 v55, v29, 0x3f62ad3f, v65
	v_mul_f32_e32 v56, 0xbf6f5d39, v61
	v_add_f32_e32 v59, v60, v63
	v_add_f32_e32 v60, v26, v24
	v_sub_f32_e32 v24, v24, v26
	v_mul_f32_e32 v26, 0xbe750f2a, v58
	v_fma_f32 v29, 0xbeb58ec6, v29, -v30
	v_add_f32_e32 v54, v55, v54
	v_fma_f32 v55, 0xbeb58ec6, v64, -v56
	v_fmac_f32_e32 v56, 0xbeb58ec6, v64
	v_add_f32_e32 v27, v27, v25
	v_mul_f32_e32 v25, 0xbe750f2a, v24
	v_fma_f32 v30, 0xbf788fa5, v60, -v26
	v_add_f32_e32 v29, v29, v28
	v_mul_f32_e32 v28, 0x3eedf032, v58
	v_add_f32_e32 v56, v56, v33
	v_fmamk_f32 v33, v27, 0xbf788fa5, v25
	v_add_f32_e32 v122, v30, v31
	v_fmac_f32_e32 v26, 0xbf788fa5, v60
	v_fma_f32 v25, 0xbf788fa5, v27, -v25
	v_fma_f32 v30, 0x3f62ad3f, v60, -v28
	v_mul_f32_e32 v31, 0x3eedf032, v24
	v_fmac_f32_e32 v28, 0x3f62ad3f, v60
	v_add_f32_e32 v124, v26, v38
	v_add_f32_e32 v125, v25, v32
	;; [unrolled: 1-line block ×3, first 2 shown]
	v_mul_f32_e32 v25, 0xbf29c268, v58
	v_fmamk_f32 v26, v27, 0x3f62ad3f, v31
	v_fma_f32 v30, 0x3f62ad3f, v27, -v31
	v_mul_f32_e32 v31, 0xbf29c268, v24
	v_add_f32_e32 v128, v28, v34
	v_fma_f32 v32, 0xbf3f9e67, v60, -v25
	v_add_f32_e32 v127, v26, v39
	v_mul_f32_e32 v28, 0x3f52af12, v58
	v_fmamk_f32 v26, v27, 0xbf3f9e67, v31
	v_fmac_f32_e32 v25, 0xbf3f9e67, v60
	v_add_f32_e32 v129, v30, v37
	v_fma_f32 v30, 0xbf3f9e67, v27, -v31
	v_fma_f32 v31, 0x3f116cb1, v60, -v28
	v_add_f32_e32 v131, v26, v41
	v_mul_f32_e32 v26, 0x3f52af12, v24
	v_add_f32_e32 v132, v25, v44
	v_mul_f32_e32 v25, 0xbf6f5d39, v58
	v_add_f32_e32 v133, v30, v43
	v_add_f32_e32 v134, v31, v45
	v_fmamk_f32 v30, v27, 0x3f116cb1, v26
	v_fma_f32 v26, 0x3f116cb1, v27, -v26
	v_fma_f32 v31, 0xbeb58ec6, v60, -v25
	v_fmac_f32_e32 v28, 0x3f116cb1, v60
	v_fmac_f32_e32 v25, 0xbeb58ec6, v60
	v_add_f32_e32 v135, v30, v53
	v_mul_f32_e32 v30, 0xbf6f5d39, v24
	v_add_f32_e32 v137, v26, v50
	v_add_f32_e32 v138, v31, v52
	v_mul_f32_e32 v26, 0x3f7e222b, v58
	v_mul_f32_e32 v31, 0x3f7e222b, v24
	v_add_f32_e32 v55, v55, v62
	v_add_f32_e32 v136, v28, v42
	v_fmamk_f32 v28, v27, 0xbeb58ec6, v30
	v_fma_f32 v24, 0xbeb58ec6, v27, -v30
	v_fma_f32 v30, 0x3df6dbef, v60, -v26
	v_add_f32_e32 v183, v25, v51
	v_fmamk_f32 v25, v27, 0x3df6dbef, v31
	v_sub_f32_e32 v76, v3, v49
	v_sub_f32_e32 v84, v2, v48
	v_add_f32_e32 v123, v33, v36
	v_add_f32_e32 v139, v28, v54
	;; [unrolled: 1-line block ×7, first 2 shown]
	v_mul_f32_e32 v28, 0xbeedf032, v76
	v_mul_f32_e32 v30, 0xbeedf032, v84
	v_fmac_f32_e32 v26, 0x3df6dbef, v60
	v_mul_f32_e32 v33, 0xbf52af12, v76
	v_add_f32_e32 v130, v32, v40
	v_fma_f32 v27, 0x3df6dbef, v27, -v31
	v_fmamk_f32 v31, v24, 0x3f62ad3f, v28
	v_fma_f32 v32, 0x3f62ad3f, v25, -v30
	v_add_f32_e32 v190, v26, v56
	v_fmamk_f32 v26, v24, 0x3f116cb1, v33
	v_mul_f32_e32 v50, 0xbf52af12, v84
	v_mul_f32_e32 v57, 0xbf7e222b, v84
	v_add_f32_e32 v191, v27, v29
	v_add_f32_e32 v29, v31, v0
	;; [unrolled: 1-line block ×4, first 2 shown]
	v_mul_f32_e32 v52, 0xbf7e222b, v76
	v_mul_f32_e32 v61, 0xbf6f5d39, v76
	v_fma_f32 v26, 0x3f116cb1, v25, -v50
	v_fma_f32 v32, 0x3df6dbef, v25, -v57
	v_sub_f32_e32 v88, v21, v7
	v_mul_f32_e32 v64, 0xbf6f5d39, v84
	v_fmamk_f32 v27, v24, 0x3df6dbef, v52
	v_fmamk_f32 v34, v24, 0xbeb58ec6, v61
	v_add_f32_e32 v37, v26, v1
	v_add_f32_e32 v39, v32, v1
	v_sub_f32_e32 v94, v20, v6
	v_add_f32_e32 v26, v6, v20
	v_mul_f32_e32 v32, 0xbf52af12, v88
	v_fma_f32 v36, 0xbeb58ec6, v25, -v64
	v_add_f32_e32 v38, v27, v0
	v_add_f32_e32 v40, v34, v0
	v_mul_f32_e32 v77, 0xbf29c268, v76
	v_add_f32_e32 v27, v7, v21
	v_mul_f32_e32 v34, 0xbf52af12, v94
	v_fmamk_f32 v43, v26, 0x3f116cb1, v32
	v_mul_f32_e32 v58, 0xbf6f5d39, v94
	v_mul_f32_e32 v75, 0x3f29c268, v94
	v_add_f32_e32 v36, v36, v1
	v_fmamk_f32 v41, v24, 0xbf3f9e67, v77
	v_mul_f32_e32 v53, 0xbf6f5d39, v88
	v_fma_f32 v44, 0x3f116cb1, v27, -v34
	v_add_f32_e32 v43, v43, v29
	v_mul_f32_e32 v60, 0xbe750f2a, v88
	v_mul_f32_e32 v73, 0x3f29c268, v88
	v_fma_f32 v29, 0xbeb58ec6, v27, -v58
	v_fma_f32 v54, 0xbf3f9e67, v27, -v75
	v_mul_f32_e32 v89, 0x3f7e222b, v88
	v_sub_f32_e32 v98, v23, v5
	v_mul_f32_e32 v82, 0xbf29c268, v84
	v_add_f32_e32 v41, v41, v0
	v_fmamk_f32 v45, v26, 0xbeb58ec6, v53
	v_add_f32_e32 v44, v44, v31
	v_fmamk_f32 v31, v26, 0xbf788fa5, v60
	v_fmamk_f32 v51, v26, 0xbf3f9e67, v73
	v_add_f32_e32 v37, v29, v37
	v_add_f32_e32 v36, v54, v36
	v_sub_f32_e32 v104, v22, v4
	v_add_f32_e32 v29, v4, v22
	v_fmamk_f32 v54, v26, 0x3df6dbef, v89
	v_mul_f32_e32 v62, 0xbe750f2a, v98
	v_fma_f32 v42, 0xbf3f9e67, v25, -v82
	v_add_f32_e32 v35, v45, v35
	v_add_f32_e32 v38, v31, v38
	;; [unrolled: 1-line block ×3, first 2 shown]
	v_mul_f32_e32 v93, 0x3f7e222b, v94
	v_add_f32_e32 v31, v5, v23
	v_mul_f32_e32 v51, 0xbf7e222b, v104
	v_add_f32_e32 v41, v54, v41
	v_fmamk_f32 v54, v29, 0xbf788fa5, v62
	v_mul_f32_e32 v65, 0xbe750f2a, v104
	v_mul_f32_e32 v86, 0x3eedf032, v104
	v_add_f32_e32 v42, v42, v1
	v_mul_f32_e32 v71, 0xbe750f2a, v94
	v_fma_f32 v55, 0x3df6dbef, v27, -v93
	v_fma_f32 v59, 0x3df6dbef, v31, -v51
	v_add_f32_e32 v54, v54, v35
	v_mul_f32_e32 v70, 0x3f6f5d39, v98
	v_mul_f32_e32 v85, 0x3eedf032, v98
	v_fma_f32 v35, 0xbf788fa5, v31, -v65
	v_fma_f32 v63, 0x3f62ad3f, v31, -v86
	v_mul_f32_e32 v99, 0xbf52af12, v98
	v_sub_f32_e32 v105, v17, v11
	v_fma_f32 v45, 0xbf788fa5, v27, -v71
	v_add_f32_e32 v42, v55, v42
	v_add_f32_e32 v55, v59, v44
	v_fmamk_f32 v44, v29, 0xbeb58ec6, v70
	v_fmamk_f32 v59, v29, 0x3f62ad3f, v85
	v_add_f32_e32 v37, v35, v37
	v_add_f32_e32 v36, v63, v36
	v_sub_f32_e32 v112, v16, v10
	v_add_f32_e32 v35, v10, v16
	v_fmamk_f32 v63, v29, 0x3f116cb1, v99
	v_mul_f32_e32 v74, 0x3f29c268, v105
	v_add_f32_e32 v39, v45, v39
	v_mul_f32_e32 v45, 0xbf7e222b, v98
	v_add_f32_e32 v38, v44, v38
	v_add_f32_e32 v40, v59, v40
	v_mul_f32_e32 v101, 0xbf52af12, v104
	v_add_f32_e32 v44, v11, v17
	v_mul_f32_e32 v59, 0xbf6f5d39, v112
	v_add_f32_e32 v41, v63, v41
	v_fmamk_f32 v63, v35, 0xbf3f9e67, v74
	v_mul_f32_e32 v78, 0x3f29c268, v112
	v_fmamk_f32 v56, v29, 0x3df6dbef, v45
	v_mul_f32_e32 v81, 0x3f6f5d39, v104
	v_fma_f32 v66, 0x3f116cb1, v31, -v101
	v_fma_f32 v69, 0xbeb58ec6, v44, -v59
	v_add_f32_e32 v63, v63, v54
	v_mul_f32_e32 v79, 0x3eedf032, v105
	v_mul_f32_e32 v95, 0xbf7e222b, v105
	v_fma_f32 v54, 0xbf3f9e67, v44, -v78
	v_mul_f32_e32 v97, 0xbf7e222b, v112
	v_add_f32_e32 v43, v56, v43
	v_fma_f32 v56, 0xbeb58ec6, v31, -v81
	v_add_f32_e32 v42, v66, v42
	v_add_f32_e32 v66, v69, v55
	v_fmamk_f32 v55, v35, 0x3f62ad3f, v79
	v_fmamk_f32 v69, v35, 0x3df6dbef, v95
	v_add_f32_e32 v37, v54, v37
	v_fma_f32 v54, 0x3df6dbef, v44, -v97
	v_mul_f32_e32 v108, 0x3e750f2a, v105
	v_sub_f32_e32 v111, v19, v9
	v_mul_f32_e32 v110, 0x3e750f2a, v112
	v_sub_f32_e32 v118, v18, v8
	v_add_f32_e32 v39, v56, v39
	v_mul_f32_e32 v56, 0xbf6f5d39, v105
	v_add_f32_e32 v38, v55, v38
	v_add_f32_e32 v40, v69, v40
	;; [unrolled: 1-line block ×3, first 2 shown]
	v_fmamk_f32 v69, v35, 0xbf788fa5, v108
	v_add_f32_e32 v54, v8, v18
	v_add_f32_e32 v55, v9, v19
	v_mul_f32_e32 v72, 0xbf29c268, v118
	v_fma_f32 v80, 0xbf788fa5, v44, -v110
	v_mul_f32_e32 v87, 0x3f7e222b, v111
	v_fmamk_f32 v67, v35, 0xbeb58ec6, v56
	v_mul_f32_e32 v91, 0x3eedf032, v112
	v_add_f32_e32 v41, v69, v41
	v_fma_f32 v69, 0xbf3f9e67, v55, -v72
	v_add_f32_e32 v42, v80, v42
	v_fmamk_f32 v80, v54, 0x3df6dbef, v87
	v_mul_f32_e32 v90, 0x3f7e222b, v118
	v_mul_f32_e32 v92, 0xbf52af12, v111
	v_add_f32_e32 v43, v67, v43
	v_fma_f32 v67, 0x3f62ad3f, v44, -v91
	v_add_f32_e32 v69, v69, v66
	v_add_f32_e32 v113, v80, v63
	v_mul_f32_e32 v103, 0xbf52af12, v118
	v_fma_f32 v63, 0x3df6dbef, v55, -v90
	v_mul_f32_e32 v106, 0x3e750f2a, v111
	v_fmamk_f32 v66, v54, 0x3f116cb1, v92
	v_mul_f32_e32 v107, 0x3e750f2a, v118
	v_add_f32_e32 v39, v67, v39
	v_mul_f32_e32 v67, 0xbf29c268, v111
	v_fma_f32 v80, 0x3f116cb1, v55, -v103
	v_add_f32_e32 v37, v63, v37
	v_fmamk_f32 v63, v54, 0xbf788fa5, v106
	v_add_f32_e32 v114, v66, v38
	v_fma_f32 v38, 0xbf788fa5, v55, -v107
	v_mul_f32_e32 v115, 0x3eedf032, v111
	v_sub_f32_e32 v117, v13, v15
	v_fmamk_f32 v83, v54, 0xbf3f9e67, v67
	v_add_f32_e32 v120, v80, v39
	v_add_f32_e32 v40, v63, v40
	;; [unrolled: 1-line block ×3, first 2 shown]
	v_fmamk_f32 v36, v54, 0x3f62ad3f, v115
	v_add_f32_e32 v63, v14, v12
	v_mul_f32_e32 v80, 0xbe750f2a, v117
	v_sub_f32_e32 v121, v12, v14
	v_add_f32_e32 v43, v83, v43
	v_mul_f32_e32 v116, 0x3eedf032, v118
	v_add_f32_e32 v41, v36, v41
	v_add_f32_e32 v66, v15, v13
	v_fmamk_f32 v36, v63, 0xbf788fa5, v80
	v_mul_f32_e32 v83, 0xbe750f2a, v121
	v_mul_f32_e32 v100, 0x3eedf032, v121
	v_fma_f32 v38, 0x3f62ad3f, v55, -v116
	v_mul_f32_e32 v96, 0x3eedf032, v117
	v_add_f32_e32 v181, v36, v43
	v_fma_f32 v36, 0xbf788fa5, v66, -v83
	v_mul_f32_e32 v102, 0xbf29c268, v117
	v_fma_f32 v39, 0x3f62ad3f, v66, -v100
	v_mul_f32_e32 v109, 0xbf29c268, v121
	v_add_f32_e32 v192, v38, v42
	v_fmamk_f32 v38, v63, 0x3f62ad3f, v96
	v_add_f32_e32 v182, v36, v69
	v_fmamk_f32 v36, v63, 0xbf3f9e67, v102
	v_add_f32_e32 v39, v39, v37
	v_fma_f32 v37, 0xbf3f9e67, v66, -v109
	v_add_f32_e32 v38, v38, v113
	v_mul_f32_e32 v113, 0x3f52af12, v117
	v_add_f32_e32 v36, v36, v114
	v_mul_f32_e32 v114, 0x3f52af12, v121
	v_mul_f32_e32 v119, 0xbf6f5d39, v117
	v_add_f32_e32 v37, v37, v120
	v_mul_f32_e32 v120, 0xbf6f5d39, v121
	v_fmamk_f32 v42, v63, 0x3f116cb1, v113
	v_fma_f32 v43, 0x3f116cb1, v66, -v114
	v_fmamk_f32 v193, v63, 0xbeb58ec6, v119
	v_mul_lo_u16 v194, v188, 13
	v_mov_b32_e32 v69, 3
	v_fma_f32 v195, 0xbeb58ec6, v66, -v120
	v_add_f32_e32 v42, v42, v40
	v_add_f32_e32 v43, v43, v189
	;; [unrolled: 1-line block ×3, first 2 shown]
	v_lshlrev_b32_sdwa v194, v69, v194 dst_sel:DWORD dst_unused:UNUSED_PAD src0_sel:DWORD src1_sel:WORD_0
	v_add_f32_e32 v41, v195, v192
	v_mul_u32_u24_e32 v189, 13, v68
	s_barrier
	buffer_gl0_inv
	ds_write2_b64 v194, v[46:47], v[122:123] offset1:1
	ds_write2_b64 v194, v[126:127], v[130:131] offset0:2 offset1:3
	ds_write2_b64 v194, v[134:135], v[138:139] offset0:4 offset1:5
	;; [unrolled: 1-line block ×5, first 2 shown]
	ds_write_b64 v194, v[124:125] offset:96
	s_and_saveexec_b32 s0, vcc_lo
	s_cbranch_execz .LBB0_7
; %bb.6:
	v_mul_f32_e32 v84, 0xbe750f2a, v84
	v_mul_f32_e32 v94, 0x3eedf032, v94
	;; [unrolled: 1-line block ×5, first 2 shown]
	v_fmamk_f32 v218, v25, 0xbf788fa5, v84
	v_fmamk_f32 v222, v27, 0x3f62ad3f, v94
	v_mul_f32_e32 v47, 0xbf3f9e67, v25
	v_mul_f32_e32 v118, 0xbf6f5d39, v118
	v_fma_f32 v229, 0xbf788fa5, v24, -v228
	v_add_f32_e32 v218, v218, v1
	v_mul_f32_e32 v88, 0x3eedf032, v88
	v_mul_f32_e32 v46, 0xbf3f9e67, v24
	;; [unrolled: 1-line block ×4, first 2 shown]
	v_add_f32_e32 v218, v222, v218
	v_fmamk_f32 v222, v31, 0xbf3f9e67, v104
	v_add_f32_e32 v229, v229, v0
	v_fma_f32 v230, 0x3f62ad3f, v26, -v88
	v_mul_f32_e32 v98, 0xbf29c268, v98
	v_add_f32_e32 v47, v82, v47
	v_add_f32_e32 v76, v222, v218
	v_fmamk_f32 v218, v44, 0x3f116cb1, v112
	v_mul_f32_e32 v138, 0x3df6dbef, v26
	v_mul_f32_e32 v196, 0x3f116cb1, v31
	v_fmamk_f32 v82, v66, 0x3df6dbef, v121
	v_mul_f32_e32 v105, 0x3f52af12, v105
	v_add_f32_e32 v76, v218, v76
	v_fmamk_f32 v218, v55, 0xbeb58ec6, v118
	v_add_f32_e32 v93, v93, v139
	v_sub_f32_e32 v46, v46, v77
	v_mul_f32_e32 v195, 0x3f116cb1, v29
	v_mul_f32_e32 v206, 0xbf788fa5, v44
	v_add_f32_e32 v76, v218, v76
	v_add_f32_e32 v218, v230, v229
	v_fma_f32 v229, 0xbf3f9e67, v29, -v98
	v_add_f32_e32 v230, v47, v1
	v_fma_f32 v77, 0x3f116cb1, v35, -v105
	v_add_f32_e32 v47, v82, v76
	v_add_f32_e32 v46, v46, v0
	v_add_f32_e32 v76, v229, v218
	v_add_f32_e32 v82, v93, v230
	v_add_f32_e32 v93, v101, v196
	v_sub_f32_e32 v89, v138, v89
	v_mul_f32_e32 v205, 0xbf788fa5, v35
	v_mul_f32_e32 v216, 0x3f62ad3f, v55
	v_add_f32_e32 v76, v77, v76
	v_mul_f32_e32 v77, 0xbf6f5d39, v111
	v_add_f32_e32 v82, v93, v82
	v_add_f32_e32 v93, v110, v206
	;; [unrolled: 1-line block ×3, first 2 shown]
	v_sub_f32_e32 v89, v195, v99
	v_mul_f32_e32 v128, 0xbeb58ec6, v24
	v_mul_f32_e32 v129, 0xbeb58ec6, v25
	;; [unrolled: 1-line block ×4, first 2 shown]
	v_fma_f32 v99, 0xbeb58ec6, v54, -v77
	v_mul_f32_e32 v101, 0x3f7e222b, v117
	v_add_f32_e32 v82, v93, v82
	v_add_f32_e32 v93, v116, v216
	;; [unrolled: 1-line block ×3, first 2 shown]
	v_sub_f32_e32 v89, v205, v108
	v_mul_f32_e32 v127, 0x3df6dbef, v25
	v_mul_f32_e32 v136, 0xbf3f9e67, v26
	v_mul_f32_e32 v137, 0xbf3f9e67, v27
	v_mul_f32_e32 v227, 0xbeb58ec6, v63
	v_add_f32_e32 v76, v99, v76
	v_fma_f32 v99, 0x3df6dbef, v63, -v101
	v_add_f32_e32 v82, v93, v82
	v_add_f32_e32 v93, v120, v222
	;; [unrolled: 1-line block ×3, first 2 shown]
	v_sub_f32_e32 v108, v215, v115
	v_add_f32_e32 v64, v64, v129
	v_sub_f32_e32 v61, v128, v61
	v_mul_f32_e32 v125, 0x3f116cb1, v25
	v_mul_f32_e32 v135, 0xbf788fa5, v27
	;; [unrolled: 1-line block ×4, first 2 shown]
	v_add_f32_e32 v46, v99, v76
	v_add_f32_e32 v76, v93, v82
	;; [unrolled: 1-line block ×3, first 2 shown]
	v_sub_f32_e32 v89, v227, v119
	v_add_f32_e32 v64, v64, v1
	v_add_f32_e32 v93, v75, v137
	;; [unrolled: 1-line block ×3, first 2 shown]
	v_sub_f32_e32 v73, v136, v73
	v_add_f32_e32 v57, v57, v127
	v_add_f32_e32 v3, v3, v1
	v_mul_f32_e32 v124, 0x3f116cb1, v24
	v_mul_f32_e32 v133, 0xbeb58ec6, v27
	;; [unrolled: 1-line block ×5, first 2 shown]
	v_add_f32_e32 v75, v89, v82
	v_add_f32_e32 v64, v93, v64
	;; [unrolled: 1-line block ×4, first 2 shown]
	v_sub_f32_e32 v73, v192, v85
	v_add_f32_e32 v57, v57, v1
	v_add_f32_e32 v71, v71, v135
	;; [unrolled: 1-line block ×5, first 2 shown]
	v_mul_f32_e32 v132, 0xbeb58ec6, v26
	v_mul_f32_e32 v186, 0xbf788fa5, v31
	;; [unrolled: 1-line block ×5, first 2 shown]
	v_add_f32_e32 v64, v82, v64
	v_add_f32_e32 v82, v97, v204
	;; [unrolled: 1-line block ×3, first 2 shown]
	v_sub_f32_e32 v73, v203, v95
	v_add_f32_e32 v57, v71, v57
	v_add_f32_e32 v71, v81, v191
	;; [unrolled: 1-line block ×4, first 2 shown]
	v_sub_f32_e32 v33, v124, v33
	v_add_f32_e32 v2, v20, v2
	v_add_f32_e32 v3, v23, v3
	v_mul_f32_e32 v185, 0xbf788fa5, v29
	v_mul_f32_e32 v200, 0xbf3f9e67, v44
	;; [unrolled: 1-line block ×5, first 2 shown]
	v_add_f32_e32 v64, v82, v64
	v_add_f32_e32 v81, v107, v214
	;; [unrolled: 1-line block ×3, first 2 shown]
	v_sub_f32_e32 v73, v213, v106
	v_add_f32_e32 v57, v71, v57
	v_add_f32_e32 v71, v91, v202
	v_add_f32_e32 v50, v58, v50
	v_add_f32_e32 v58, v65, v186
	v_add_f32_e32 v33, v33, v0
	v_sub_f32_e32 v53, v132, v53
	v_add_f32_e32 v2, v22, v2
	v_add_f32_e32 v3, v17, v3
	v_mul_f32_e32 v199, 0xbf3f9e67, v35
	v_mul_f32_e32 v210, 0x3df6dbef, v55
	;; [unrolled: 1-line block ×3, first 2 shown]
	v_add_f32_e32 v64, v81, v64
	v_add_f32_e32 v81, v114, v226
	;; [unrolled: 1-line block ×3, first 2 shown]
	v_sub_f32_e32 v73, v225, v113
	v_add_f32_e32 v57, v71, v57
	v_add_f32_e32 v71, v103, v212
	;; [unrolled: 1-line block ×5, first 2 shown]
	v_sub_f32_e32 v53, v185, v62
	v_add_f32_e32 v2, v16, v2
	v_add_f32_e32 v3, v19, v3
	v_mul_f32_e32 v122, 0x3f62ad3f, v24
	v_mul_f32_e32 v123, 0x3f62ad3f, v25
	;; [unrolled: 1-line block ×3, first 2 shown]
	v_add_f32_e32 v82, v81, v64
	v_add_f32_e32 v81, v73, v61
	v_add_f32_e32 v57, v71, v57
	v_add_f32_e32 v61, v109, v224
	v_add_f32_e32 v50, v58, v50
	v_add_f32_e32 v58, v90, v210
	v_add_f32_e32 v33, v53, v33
	v_sub_f32_e32 v53, v199, v74
	v_add_f32_e32 v2, v18, v2
	v_mul_f32_e32 v126, 0x3df6dbef, v24
	v_add_f32_e32 v13, v13, v3
	v_mul_f32_e32 v130, 0x3f116cb1, v26
	v_mul_f32_e32 v131, 0x3f116cb1, v27
	v_add_f32_e32 v50, v58, v50
	v_add_f32_e32 v58, v100, v221
	;; [unrolled: 1-line block ×5, first 2 shown]
	v_sub_f32_e32 v28, v122, v28
	v_add_f32_e32 v12, v12, v2
	v_mul_f32_e32 v134, 0xbf788fa5, v26
	v_sub_f32_e32 v52, v126, v52
	v_add_f32_e32 v13, v15, v13
	v_fma_f32 v15, 0xbf788fa5, v25, -v84
	v_fmac_f32_e32 v228, 0xbf788fa5, v24
	v_mul_f32_e32 v183, 0x3df6dbef, v29
	v_mul_f32_e32 v184, 0x3df6dbef, v31
	v_add_f32_e32 v30, v58, v50
	v_add_f32_e32 v50, v57, v1
	;; [unrolled: 1-line block ×4, first 2 shown]
	v_sub_f32_e32 v32, v130, v32
	v_add_f32_e32 v12, v14, v12
	v_mul_f32_e32 v190, 0xbeb58ec6, v29
	v_add_f32_e32 v52, v52, v0
	v_sub_f32_e32 v60, v134, v60
	v_add_f32_e32 v9, v9, v13
	v_add_f32_e32 v1, v15, v1
	v_fma_f32 v13, 0x3f62ad3f, v27, -v94
	v_add_f32_e32 v0, v228, v0
	v_fmac_f32_e32 v88, 0x3f62ad3f, v26
	v_mul_f32_e32 v197, 0xbeb58ec6, v35
	v_mul_f32_e32 v198, 0xbeb58ec6, v44
	v_add_f32_e32 v34, v34, v50
	v_add_f32_e32 v50, v51, v184
	;; [unrolled: 1-line block ×3, first 2 shown]
	v_sub_f32_e32 v28, v183, v45
	v_add_f32_e32 v8, v8, v12
	v_mul_f32_e32 v201, 0x3f62ad3f, v35
	v_add_f32_e32 v52, v60, v52
	v_sub_f32_e32 v60, v190, v70
	v_add_f32_e32 v9, v11, v9
	v_add_f32_e32 v1, v13, v1
	v_fma_f32 v11, 0xbf3f9e67, v31, -v104
	v_add_f32_e32 v0, v88, v0
	v_fmac_f32_e32 v98, 0xbf3f9e67, v29
	v_mul_f32_e32 v207, 0xbf3f9e67, v54
	v_mul_f32_e32 v208, 0xbf3f9e67, v55
	v_add_f32_e32 v32, v50, v34
	v_add_f32_e32 v20, v59, v198
	;; [unrolled: 1-line block ×3, first 2 shown]
	v_sub_f32_e32 v23, v197, v56
	v_add_f32_e32 v8, v10, v8
	v_mul_f32_e32 v209, 0x3df6dbef, v54
	v_mul_f32_e32 v211, 0x3f116cb1, v54
	v_add_f32_e32 v52, v60, v52
	v_sub_f32_e32 v60, v201, v79
	v_add_f32_e32 v5, v5, v9
	v_add_f32_e32 v1, v11, v1
	v_fma_f32 v9, 0x3f116cb1, v44, -v112
	v_add_f32_e32 v0, v98, v0
	v_fmac_f32_e32 v105, 0x3f116cb1, v35
	v_mul_f32_e32 v217, 0xbf788fa5, v63
	v_mul_f32_e32 v219, 0xbf788fa5, v66
	v_add_f32_e32 v17, v20, v32
	v_add_f32_e32 v20, v72, v208
	;; [unrolled: 1-line block ×3, first 2 shown]
	v_sub_f32_e32 v16, v207, v67
	v_add_f32_e32 v4, v4, v8
	v_mul_f32_e32 v220, 0x3f62ad3f, v63
	v_mul_f32_e32 v223, 0xbf3f9e67, v63
	v_add_f32_e32 v52, v60, v52
	v_sub_f32_e32 v60, v211, v92
	v_sub_f32_e32 v62, v209, v87
	v_add_f32_e32 v5, v7, v5
	v_add_f32_e32 v7, v9, v1
	v_fma_f32 v8, 0xbeb58ec6, v55, -v118
	v_add_f32_e32 v0, v105, v0
	v_fmac_f32_e32 v77, 0xbeb58ec6, v54
	v_add_f32_e32 v17, v20, v17
	v_add_f32_e32 v19, v83, v219
	;; [unrolled: 1-line block ×3, first 2 shown]
	v_sub_f32_e32 v18, v217, v80
	v_add_f32_e32 v4, v6, v4
	v_add_f32_e32 v52, v60, v52
	v_sub_f32_e32 v60, v223, v102
	v_add_f32_e32 v33, v62, v33
	v_sub_f32_e32 v57, v220, v96
	v_add_f32_e32 v1, v49, v5
	v_add_f32_e32 v5, v8, v7
	v_fma_f32 v6, 0x3df6dbef, v66, -v121
	v_add_f32_e32 v7, v77, v0
	v_fmac_f32_e32 v101, 0x3df6dbef, v63
	v_add_f32_e32 v3, v19, v17
	v_add_f32_e32 v2, v18, v16
	;; [unrolled: 1-line block ×3, first 2 shown]
	v_lshlrev_b32_e32 v8, 3, v189
	v_add_f32_e32 v52, v60, v52
	v_add_f32_e32 v29, v57, v33
	;; [unrolled: 1-line block ×4, first 2 shown]
	ds_write2_b64 v8, v[0:1], v[2:3] offset1:1
	ds_write2_b64 v8, v[29:30], v[52:53] offset0:2 offset1:3
	ds_write2_b64 v8, v[81:82], v[75:76] offset0:4 offset1:5
	;; [unrolled: 1-line block ×5, first 2 shown]
	ds_write_b64 v8, v[181:182] offset:96
.LBB0_7:
	s_or_b32 exec_lo, exec_lo, s0
	v_add_co_u32 v70, null, 0xb6, v188
	v_mov_b32_e32 v0, 0x4ec5
	v_and_b32_e32 v1, 0xff, v188
	s_waitcnt lgkmcnt(0)
	s_barrier
	buffer_gl0_inv
	v_mul_u32_u24_sdwa v0, v70, v0 dst_sel:DWORD dst_unused:UNUSED_PAD src0_sel:WORD_0 src1_sel:DWORD
	v_mov_b32_e32 v49, 0x6817
	v_add_nc_u32_e32 v121, 0x400, v187
	v_add_nc_u32_e32 v118, 0x1400, v187
	v_add_nc_u32_e32 v119, 0x3000, v187
	v_lshrrev_b32_e32 v44, 18, v0
	v_mul_lo_u16 v0, 0x4f, v1
	v_mul_u32_u24_sdwa v49, v70, v49 dst_sel:DWORD dst_unused:UNUSED_PAD src0_sel:WORD_0 src1_sel:DWORD
	v_add_nc_u32_e32 v132, 0x2c00, v187
	v_mov_b32_e32 v89, 0x5b
	v_mul_lo_u16 v1, v44, 13
	v_lshrrev_b16 v67, 10, v0
	v_and_b32_e32 v0, 0xff, v68
	v_lshrrev_b32_e32 v83, 16, v49
	v_add_nc_u32_e32 v116, 0x1000, v187
	v_sub_nc_u16 v87, v70, v1
	v_mul_lo_u16 v1, v67, 13
	v_mul_lo_u16 v0, 0x4f, v0
	v_sub_nc_u16 v61, v70, v83
	v_add_nc_u32_e32 v120, 0x2000, v187
	v_mul_lo_u16 v2, v87, 6
	v_sub_nc_u16 v1, v188, v1
	v_lshrrev_b16 v88, 10, v0
	v_lshrrev_b16 v84, 1, v61
	v_add_nc_u32_e32 v117, 0x800, v187
	v_lshlrev_b32_sdwa v0, v69, v2 dst_sel:DWORD dst_unused:UNUSED_PAD src0_sel:DWORD src1_sel:WORD_0
	v_and_b32_e32 v93, 0xff, v1
	v_mul_lo_u16 v1, v88, 13
	v_add_nc_u16 v90, v84, v83
	v_add_nc_u32_e32 v122, 0x1800, v187
	s_clause 0x1
	global_load_dwordx4 v[8:11], v0, s[4:5]
	global_load_dwordx4 v[4:7], v0, s[4:5] offset:16
	v_sub_nc_u16 v12, v68, v1
	v_mul_u32_u24_e32 v2, 6, v93
	v_add_nc_u32_e32 v124, 0x2400, v187
	v_mul_u32_u24_sdwa v67, v67, v89 dst_sel:DWORD dst_unused:UNUSED_PAD src0_sel:WORD_0 src1_sel:DWORD
	v_mul_u32_u24_sdwa v95, v88, v89 dst_sel:DWORD dst_unused:UNUSED_PAD src0_sel:WORD_0 src1_sel:DWORD
	v_and_b32_e32 v94, 0xff, v12
	v_lshlrev_b32_e32 v13, 3, v2
	global_load_dwordx4 v[0:3], v0, s[4:5] offset:32
	v_mad_u16 v44, 0x5b, v44, v87
	v_lshrrev_b16 v96, 6, v90
	v_mul_u32_u24_e32 v12, 6, v94
	s_clause 0x1
	global_load_dwordx4 v[32:35], v13, s[4:5]
	global_load_dwordx4 v[28:31], v13, s[4:5] offset:16
	v_add_lshl_u32 v192, v67, v93, 3
	v_add_lshl_u32 v191, v95, v94, 3
	v_lshlrev_b32_e32 v12, 3, v12
	s_clause 0x3
	global_load_dwordx4 v[24:27], v13, s[4:5] offset:32
	global_load_dwordx4 v[20:23], v12, s[4:5]
	global_load_dwordx4 v[16:19], v12, s[4:5] offset:16
	global_load_dwordx4 v[12:15], v12, s[4:5] offset:32
	ds_read2_b64 v[45:48], v187 offset1:91
	ds_read_b64 v[65:66], v187 offset:14560
	ds_read2_b64 v[49:52], v121 offset0:54 offset1:145
	ds_read2_b64 v[53:56], v116 offset0:34 offset1:125
	;; [unrolled: 1-line block ×9, first 2 shown]
	v_lshlrev_b32_sdwa v190, v69, v44 dst_sel:DWORD dst_unused:UNUSED_PAD src0_sel:DWORD src1_sel:WORD_0
	v_mul_lo_u16 v93, 0x5b, v96
	s_waitcnt vmcnt(0) lgkmcnt(0)
	s_barrier
	buffer_gl0_inv
	v_mad_u64_u32 v[91:92], null, v188, 48, s[4:5]
	v_mul_f32_e32 v44, v60, v9
	v_mul_f32_e32 v67, v59, v9
	;; [unrolled: 1-line block ×8, first 2 shown]
	v_fma_f32 v44, v59, v8, -v44
	v_mul_f32_e32 v100, v86, v1
	v_mul_f32_e32 v101, v85, v1
	;; [unrolled: 1-line block ×28, first 2 shown]
	v_fmac_f32_e32 v67, v60, v8
	v_fma_f32 v59, v61, v10, -v94
	v_fmac_f32_e32 v95, v62, v10
	v_fma_f32 v60, v77, v4, -v96
	;; [unrolled: 2-line block ×17, first 2 shown]
	v_fmac_f32_e32 v131, v74, v18
	v_add_f32_e32 v72, v44, v65
	v_add_f32_e32 v73, v67, v103
	v_sub_f32_e32 v44, v44, v65
	v_sub_f32_e32 v65, v67, v103
	v_add_f32_e32 v67, v59, v62
	v_add_f32_e32 v74, v95, v101
	v_sub_f32_e32 v59, v59, v62
	v_sub_f32_e32 v62, v95, v101
	;; [unrolled: 4-line block ×3, first 2 shown]
	v_add_f32_e32 v77, v51, v64
	v_add_f32_e32 v78, v105, v115
	;; [unrolled: 1-line block ×4, first 2 shown]
	v_sub_f32_e32 v51, v51, v64
	v_sub_f32_e32 v64, v105, v115
	;; [unrolled: 1-line block ×4, first 2 shown]
	v_add_f32_e32 v81, v53, v54
	v_add_f32_e32 v82, v109, v111
	v_sub_f32_e32 v53, v54, v53
	v_sub_f32_e32 v54, v111, v109
	v_add_f32_e32 v83, v57, v71
	v_add_f32_e32 v84, v125, v136
	;; [unrolled: 1-line block ×4, first 2 shown]
	v_sub_f32_e32 v57, v57, v71
	v_sub_f32_e32 v71, v125, v136
	;; [unrolled: 1-line block ×4, first 2 shown]
	v_add_f32_e32 v87, v56, v58
	v_sub_f32_e32 v56, v58, v56
	v_sub_f32_e32 v58, v131, v129
	v_add_f32_e32 v89, v67, v72
	v_add_f32_e32 v90, v74, v73
	v_sub_f32_e32 v94, v67, v72
	v_sub_f32_e32 v95, v74, v73
	;; [unrolled: 1-line block ×5, first 2 shown]
	v_add_f32_e32 v96, v60, v59
	v_add_f32_e32 v97, v61, v62
	v_sub_f32_e32 v99, v61, v62
	v_sub_f32_e32 v62, v62, v65
	v_add_f32_e32 v100, v79, v77
	v_add_f32_e32 v101, v80, v78
	v_add_f32_e32 v88, v129, v131
	v_sub_f32_e32 v74, v76, v74
	v_sub_f32_e32 v98, v60, v59
	;; [unrolled: 1-line block ×9, first 2 shown]
	v_add_f32_e32 v104, v53, v52
	v_add_f32_e32 v105, v54, v63
	v_sub_f32_e32 v106, v53, v52
	v_sub_f32_e32 v107, v54, v63
	;; [unrolled: 1-line block ×4, first 2 shown]
	v_add_f32_e32 v108, v85, v83
	v_add_f32_e32 v109, v86, v84
	v_sub_f32_e32 v60, v44, v60
	v_sub_f32_e32 v61, v65, v61
	v_add_f32_e32 v113, v58, v66
	v_sub_f32_e32 v115, v58, v66
	v_sub_f32_e32 v66, v66, v71
	v_add_f32_e32 v75, v75, v89
	v_add_f32_e32 v89, v96, v44
	;; [unrolled: 1-line block ×3, first 2 shown]
	v_mul_f32_e32 v44, 0x3f4a47b2, v72
	v_mul_f32_e32 v72, 0x3f4a47b2, v73
	;; [unrolled: 1-line block ×5, first 2 shown]
	v_add_f32_e32 v81, v81, v100
	v_add_f32_e32 v82, v82, v101
	v_sub_f32_e32 v110, v85, v83
	v_sub_f32_e32 v111, v86, v84
	;; [unrolled: 1-line block ×4, first 2 shown]
	v_add_f32_e32 v112, v56, v55
	v_sub_f32_e32 v114, v56, v55
	v_sub_f32_e32 v55, v55, v57
	v_add_f32_e32 v76, v76, v90
	v_sub_f32_e32 v53, v51, v53
	v_sub_f32_e32 v54, v64, v54
	;; [unrolled: 1-line block ×4, first 2 shown]
	v_mul_f32_e32 v90, 0x3d64c772, v74
	v_mul_f32_e32 v96, 0xbf08b237, v98
	;; [unrolled: 1-line block ×3, first 2 shown]
	v_add_f32_e32 v51, v104, v51
	v_add_f32_e32 v64, v105, v64
	v_mul_f32_e32 v77, 0x3f4a47b2, v77
	v_mul_f32_e32 v78, 0x3f4a47b2, v78
	;; [unrolled: 1-line block ×8, first 2 shown]
	v_add_f32_e32 v87, v87, v108
	v_add_f32_e32 v88, v88, v109
	v_sub_f32_e32 v58, v71, v58
	v_add_f32_e32 v71, v113, v71
	v_mul_f32_e32 v113, 0xbf08b237, v115
	v_mul_f32_e32 v115, 0x3f5ff5aa, v66
	v_fmamk_f32 v67, v67, 0x3d64c772, v44
	v_fma_f32 v73, 0x3f3bfb3b, v94, -v73
	v_fma_f32 v94, 0xbf3bfb3b, v94, -v44
	v_fmamk_f32 v123, v61, 0x3eae86e6, v97
	v_fma_f32 v62, 0x3f5ff5aa, v62, -v97
	v_fma_f32 v61, 0xbeae86e6, v61, -v99
	v_add_f32_e32 v44, v45, v81
	v_add_f32_e32 v45, v46, v82
	v_sub_f32_e32 v56, v57, v56
	v_add_f32_e32 v57, v112, v57
	v_mul_f32_e32 v83, 0x3f4a47b2, v83
	v_mul_f32_e32 v84, 0x3f4a47b2, v84
	;; [unrolled: 1-line block ×4, first 2 shown]
	v_add_f32_e32 v49, v49, v75
	v_add_f32_e32 v50, v50, v76
	v_fmamk_f32 v74, v74, 0x3d64c772, v72
	v_fma_f32 v90, 0x3f3bfb3b, v95, -v90
	v_fma_f32 v72, 0xbf3bfb3b, v95, -v72
	v_fmamk_f32 v95, v60, 0x3eae86e6, v96
	v_fma_f32 v59, 0x3f5ff5aa, v59, -v96
	v_fma_f32 v60, 0xbeae86e6, v60, -v98
	v_fmamk_f32 v79, v79, 0x3d64c772, v77
	v_fmamk_f32 v80, v80, 0x3d64c772, v78
	v_fma_f32 v96, 0x3f3bfb3b, v102, -v100
	v_fma_f32 v97, 0x3f3bfb3b, v103, -v101
	;; [unrolled: 1-line block ×4, first 2 shown]
	v_fmamk_f32 v98, v53, 0x3eae86e6, v104
	v_fmamk_f32 v99, v54, 0x3eae86e6, v105
	v_fma_f32 v100, 0x3f5ff5aa, v52, -v104
	v_fma_f32 v101, 0x3f5ff5aa, v63, -v105
	;; [unrolled: 1-line block ×4, first 2 shown]
	v_add_f32_e32 v46, v47, v87
	v_add_f32_e32 v47, v48, v88
	v_mul_f32_e32 v108, 0x3d64c772, v85
	v_mul_f32_e32 v109, 0x3d64c772, v86
	v_fmamk_f32 v105, v58, 0x3eae86e6, v113
	v_fma_f32 v107, 0xbeae86e6, v58, -v115
	v_fmac_f32_e32 v123, 0x3ee1c552, v65
	v_fmac_f32_e32 v62, 0x3ee1c552, v65
	;; [unrolled: 1-line block ×3, first 2 shown]
	v_fmamk_f32 v58, v81, 0xbf955555, v44
	v_fmamk_f32 v65, v82, 0xbf955555, v45
	;; [unrolled: 1-line block ×5, first 2 shown]
	v_fma_f32 v86, 0x3f5ff5aa, v55, -v112
	v_fma_f32 v85, 0x3f5ff5aa, v66, -v113
	;; [unrolled: 1-line block ×3, first 2 shown]
	v_fmamk_f32 v55, v75, 0xbf955555, v49
	v_fmamk_f32 v56, v76, 0xbf955555, v50
	v_fmac_f32_e32 v98, 0x3ee1c552, v51
	v_fmac_f32_e32 v99, 0x3ee1c552, v64
	v_fmac_f32_e32 v100, 0x3ee1c552, v51
	v_fmac_f32_e32 v101, 0x3ee1c552, v64
	v_fmac_f32_e32 v102, 0x3ee1c552, v51
	v_fmac_f32_e32 v103, 0x3ee1c552, v64
	v_fmamk_f32 v51, v87, 0xbf955555, v46
	v_fmamk_f32 v64, v88, 0xbf955555, v47
	v_fma_f32 v53, 0x3f3bfb3b, v110, -v108
	v_fma_f32 v54, 0x3f3bfb3b, v111, -v109
	;; [unrolled: 1-line block ×4, first 2 shown]
	v_add_f32_e32 v79, v79, v58
	v_add_f32_e32 v80, v80, v65
	v_fmac_f32_e32 v59, 0x3ee1c552, v89
	v_fmac_f32_e32 v60, 0x3ee1c552, v89
	;; [unrolled: 1-line block ×8, first 2 shown]
	v_add_f32_e32 v66, v67, v55
	v_add_f32_e32 v67, v74, v56
	;; [unrolled: 1-line block ×12, first 2 shown]
	v_fmac_f32_e32 v95, 0x3ee1c552, v89
	v_add_f32_e32 v87, v53, v51
	v_add_f32_e32 v88, v54, v64
	;; [unrolled: 1-line block ×5, first 2 shown]
	v_sub_f32_e32 v64, v80, v98
	v_add_f32_e32 v51, v123, v66
	v_add_f32_e32 v53, v61, v73
	v_sub_f32_e32 v54, v72, v60
	v_add_f32_e32 v56, v59, v71
	v_sub_f32_e32 v58, v71, v59
	v_sub_f32_e32 v59, v73, v61
	v_add_f32_e32 v60, v60, v72
	v_sub_f32_e32 v61, v66, v123
	v_add_f32_e32 v65, v103, v76
	v_sub_f32_e32 v66, v77, v102
	v_sub_f32_e32 v71, v74, v101
	v_add_f32_e32 v72, v100, v75
	v_add_f32_e32 v73, v101, v74
	v_sub_f32_e32 v74, v75, v100
	v_sub_f32_e32 v75, v76, v103
	v_add_f32_e32 v76, v102, v77
	v_sub_f32_e32 v77, v79, v99
	v_add_f32_e32 v78, v98, v80
	v_add_f32_e32 v79, v105, v48
	v_sub_f32_e32 v80, v90, v104
	v_sub_f32_e32 v52, v67, v95
	;; [unrolled: 1-line block ×3, first 2 shown]
	v_add_f32_e32 v57, v62, v57
	v_add_f32_e32 v62, v95, v67
	;; [unrolled: 1-line block ×3, first 2 shown]
	v_sub_f32_e32 v82, v94, v106
	v_sub_f32_e32 v83, v87, v85
	v_add_f32_e32 v84, v86, v88
	v_add_f32_e32 v85, v85, v87
	v_sub_f32_e32 v86, v88, v86
	v_sub_f32_e32 v87, v89, v107
	v_add_f32_e32 v88, v106, v94
	v_sub_f32_e32 v89, v48, v105
	v_add_f32_e32 v90, v104, v90
	ds_write2_b64 v192, v[44:45], v[63:64] offset1:13
	ds_write2_b64 v192, v[65:66], v[71:72] offset0:26 offset1:39
	ds_write2_b64 v192, v[73:74], v[75:76] offset0:52 offset1:65
	ds_write_b64 v192, v[77:78] offset:624
	ds_write2_b64 v191, v[46:47], v[79:80] offset1:13
	ds_write2_b64 v191, v[81:82], v[83:84] offset0:26 offset1:39
	ds_write2_b64 v191, v[85:86], v[87:88] offset0:52 offset1:65
	ds_write_b64 v191, v[89:90] offset:624
	;; [unrolled: 4-line block ×3, first 2 shown]
	v_sub_nc_u16 v71, v70, v93
	s_waitcnt lgkmcnt(0)
	s_barrier
	buffer_gl0_inv
	s_clause 0x1
	global_load_dwordx4 v[64:67], v[91:92], off offset:624
	global_load_dwordx4 v[60:63], v[91:92], off offset:640
	v_mul_lo_u16 v44, v71, 48
	global_load_dwordx4 v[56:59], v[91:92], off offset:656
	v_lshlrev_b32_e32 v72, 4, v188
	v_lshlrev_b32_e32 v115, 4, v68
	v_lshlrev_b32_sdwa v193, v69, v71 dst_sel:DWORD dst_unused:UNUSED_PAD src0_sel:DWORD src1_sel:WORD_0
	v_and_b32_e32 v44, 0xffff, v44
	v_add_nc_u32_e32 v71, 0x2400, v193
	v_add_co_u32 v44, s0, s4, v44
	v_add_co_ci_u32_e64 v45, null, s5, 0, s0
	s_clause 0x2
	global_load_dwordx4 v[52:55], v[44:45], off offset:624
	global_load_dwordx4 v[48:51], v[44:45], off offset:640
	;; [unrolled: 1-line block ×3, first 2 shown]
	v_add_co_u32 v68, s0, s4, v72
	v_add_co_ci_u32_e64 v85, null, s5, 0, s0
	ds_read2_b64 v[73:76], v121 offset0:54 offset1:145
	ds_read2_b64 v[77:80], v116 offset0:34 offset1:125
	;; [unrolled: 1-line block ×5, first 2 shown]
	v_add_co_u32 v68, s0, 0x1000, v68
	v_add_co_ci_u32_e64 v69, s0, 0, v85, s0
	ds_read2_b64 v[85:88], v120 offset0:68 offset1:159
	ds_read2_b64 v[97:100], v117 offset0:108 offset1:199
	ds_read2_b64 v[101:104], v187 offset1:91
	ds_read2_b64 v[105:108], v122 offset0:142 offset1:233
	ds_read2_b64 v[109:112], v132 offset0:48 offset1:139
	ds_read_b64 v[113:114], v187 offset:14560
	v_add_nc_u32_e32 v123, 0x2c00, v193
	v_add_nc_u32_e32 v125, 0x3000, v193
	s_waitcnt vmcnt(0) lgkmcnt(0)
	s_barrier
	buffer_gl0_inv
	v_mul_f32_e32 v126, v76, v65
	v_mul_f32_e32 v127, v75, v65
	;; [unrolled: 1-line block ×35, first 2 shown]
	v_fma_f32 v75, v75, v64, -v126
	v_fmac_f32_e32 v127, v76, v64
	v_fma_f32 v76, v77, v66, -v128
	v_fmac_f32_e32 v129, v78, v66
	;; [unrolled: 2-line block ×5, first 2 shown]
	v_mul_f32_e32 v207, v107, v49
	v_fma_f32 v78, v85, v62, -v133
	v_fmac_f32_e32 v134, v86, v62
	v_fma_f32 v85, v97, v64, -v139
	v_fmac_f32_e32 v183, v98, v64
	;; [unrolled: 2-line block ×9, first 2 shown]
	v_fma_f32 v82, v107, v48, -v206
	v_fma_f32 v89, v89, v50, -v208
	v_fmac_f32_e32 v209, v90, v50
	v_fma_f32 v90, v111, v44, -v210
	v_fmac_f32_e32 v211, v112, v44
	;; [unrolled: 2-line block ×3, first 2 shown]
	v_add_f32_e32 v93, v75, v84
	v_add_f32_e32 v94, v127, v138
	;; [unrolled: 1-line block ×4, first 2 shown]
	v_fmac_f32_e32 v207, v108, v48
	v_sub_f32_e32 v75, v75, v84
	v_sub_f32_e32 v84, v127, v138
	;; [unrolled: 1-line block ×4, first 2 shown]
	v_add_f32_e32 v97, v77, v78
	v_add_f32_e32 v98, v131, v134
	v_sub_f32_e32 v77, v78, v77
	v_sub_f32_e32 v78, v134, v131
	v_add_f32_e32 v99, v85, v88
	v_add_f32_e32 v100, v183, v201
	;; [unrolled: 1-line block ×4, first 2 shown]
	v_sub_f32_e32 v85, v85, v88
	v_sub_f32_e32 v88, v183, v201
	;; [unrolled: 1-line block ×4, first 2 shown]
	v_add_f32_e32 v107, v80, v86
	v_add_f32_e32 v108, v195, v197
	v_sub_f32_e32 v80, v86, v80
	v_sub_f32_e32 v86, v197, v195
	v_add_f32_e32 v109, v91, v92
	v_add_f32_e32 v110, v203, v213
	v_sub_f32_e32 v91, v91, v92
	v_add_f32_e32 v111, v81, v90
	v_add_f32_e32 v112, v205, v211
	v_sub_f32_e32 v81, v81, v90
	v_add_f32_e32 v113, v82, v89
	v_sub_f32_e32 v82, v89, v82
	v_add_f32_e32 v126, v95, v93
	v_add_f32_e32 v127, v96, v94
	v_sub_f32_e32 v92, v203, v213
	v_sub_f32_e32 v90, v205, v211
	v_add_f32_e32 v114, v207, v209
	v_sub_f32_e32 v89, v209, v207
	v_sub_f32_e32 v128, v95, v93
	;; [unrolled: 1-line block ×7, first 2 shown]
	v_add_f32_e32 v130, v77, v76
	v_add_f32_e32 v131, v78, v83
	v_sub_f32_e32 v133, v77, v76
	v_sub_f32_e32 v134, v78, v83
	;; [unrolled: 1-line block ×4, first 2 shown]
	v_add_f32_e32 v76, v105, v99
	v_add_f32_e32 v136, v106, v100
	v_sub_f32_e32 v137, v105, v99
	v_sub_f32_e32 v138, v106, v100
	;; [unrolled: 1-line block ×6, first 2 shown]
	v_add_f32_e32 v139, v80, v79
	v_add_f32_e32 v183, v86, v87
	v_sub_f32_e32 v184, v80, v79
	v_sub_f32_e32 v185, v86, v87
	;; [unrolled: 1-line block ×4, first 2 shown]
	v_add_f32_e32 v186, v111, v109
	v_add_f32_e32 v195, v112, v110
	v_sub_f32_e32 v196, v111, v109
	v_sub_f32_e32 v109, v109, v113
	v_add_f32_e32 v198, v82, v81
	v_sub_f32_e32 v200, v82, v81
	v_sub_f32_e32 v81, v81, v91
	v_add_f32_e32 v97, v97, v126
	v_add_f32_e32 v98, v98, v127
	v_sub_f32_e32 v197, v112, v110
	v_sub_f32_e32 v110, v110, v114
	v_add_f32_e32 v199, v89, v90
	v_sub_f32_e32 v201, v89, v90
	v_sub_f32_e32 v90, v90, v92
	;; [unrolled: 1-line block ×4, first 2 shown]
	v_add_f32_e32 v126, v130, v75
	v_add_f32_e32 v84, v131, v84
	v_mul_f32_e32 v93, 0x3f4a47b2, v93
	v_mul_f32_e32 v94, 0x3f4a47b2, v94
	;; [unrolled: 1-line block ×8, first 2 shown]
	v_add_f32_e32 v107, v107, v76
	v_add_f32_e32 v108, v108, v136
	v_sub_f32_e32 v80, v85, v80
	v_sub_f32_e32 v86, v88, v86
	;; [unrolled: 1-line block ×5, first 2 shown]
	v_add_f32_e32 v85, v139, v85
	v_add_f32_e32 v88, v183, v88
	v_mul_f32_e32 v99, 0x3f4a47b2, v99
	v_mul_f32_e32 v100, 0x3f4a47b2, v100
	v_mul_f32_e32 v136, 0x3d64c772, v105
	v_mul_f32_e32 v139, 0x3d64c772, v106
	v_mul_f32_e32 v183, 0xbf08b237, v184
	v_mul_f32_e32 v184, 0xbf08b237, v185
	v_mul_f32_e32 v185, 0x3f5ff5aa, v79
	v_mul_f32_e32 v203, 0x3f5ff5aa, v87
	v_add_f32_e32 v113, v113, v186
	v_add_f32_e32 v114, v114, v195
	;; [unrolled: 1-line block ×3, first 2 shown]
	v_mul_f32_e32 v109, 0x3f4a47b2, v109
	v_mul_f32_e32 v198, 0xbf08b237, v200
	;; [unrolled: 1-line block ×3, first 2 shown]
	v_add_f32_e32 v75, v101, v97
	v_add_f32_e32 v76, v102, v98
	v_sub_f32_e32 v89, v92, v89
	v_add_f32_e32 v92, v199, v92
	v_mul_f32_e32 v110, 0x3f4a47b2, v110
	v_mul_f32_e32 v199, 0xbf08b237, v201
	v_mul_f32_e32 v201, 0x3f5ff5aa, v90
	v_fmamk_f32 v95, v95, 0x3d64c772, v93
	v_fmamk_f32 v96, v96, 0x3d64c772, v94
	v_fma_f32 v101, 0x3f3bfb3b, v128, -v127
	v_fma_f32 v102, 0x3f3bfb3b, v129, -v130
	;; [unrolled: 1-line block ×4, first 2 shown]
	v_fmamk_f32 v127, v77, 0x3eae86e6, v131
	v_fmamk_f32 v128, v78, 0x3eae86e6, v133
	v_fma_f32 v129, 0x3f5ff5aa, v135, -v131
	v_fma_f32 v130, 0x3f5ff5aa, v83, -v133
	v_fma_f32 v131, 0xbeae86e6, v77, -v134
	v_fma_f32 v133, 0xbeae86e6, v78, -v202
	v_add_f32_e32 v77, v103, v107
	v_add_f32_e32 v78, v104, v108
	v_mul_f32_e32 v186, 0x3d64c772, v111
	v_mul_f32_e32 v195, 0x3d64c772, v112
	v_fmamk_f32 v83, v105, 0x3d64c772, v99
	v_fmamk_f32 v103, v106, 0x3d64c772, v100
	v_fma_f32 v104, 0x3f3bfb3b, v137, -v136
	v_fma_f32 v105, 0x3f3bfb3b, v138, -v139
	;; [unrolled: 1-line block ×4, first 2 shown]
	v_fmamk_f32 v106, v80, 0x3eae86e6, v183
	v_fmamk_f32 v134, v86, 0x3eae86e6, v184
	v_fma_f32 v135, 0x3f5ff5aa, v79, -v183
	v_fma_f32 v136, 0x3f5ff5aa, v87, -v184
	;; [unrolled: 1-line block ×4, first 2 shown]
	v_add_f32_e32 v73, v73, v113
	v_add_f32_e32 v74, v74, v114
	v_fmamk_f32 v79, v111, 0x3d64c772, v109
	v_fmamk_f32 v139, v82, 0x3eae86e6, v198
	v_fma_f32 v111, 0x3f5ff5aa, v81, -v198
	v_fma_f32 v184, 0xbeae86e6, v82, -v200
	v_fmamk_f32 v81, v97, 0xbf955555, v75
	v_fmamk_f32 v82, v98, 0xbf955555, v76
	;; [unrolled: 1-line block ×4, first 2 shown]
	v_fma_f32 v112, 0x3f5ff5aa, v90, -v199
	v_fma_f32 v185, 0xbeae86e6, v89, -v201
	v_fmac_f32_e32 v128, 0x3ee1c552, v84
	v_fmac_f32_e32 v130, 0x3ee1c552, v84
	;; [unrolled: 1-line block ×3, first 2 shown]
	v_fmamk_f32 v84, v107, 0xbf955555, v77
	v_fmamk_f32 v89, v108, 0xbf955555, v78
	v_fma_f32 v86, 0x3f3bfb3b, v196, -v186
	v_fma_f32 v87, 0x3f3bfb3b, v197, -v195
	;; [unrolled: 1-line block ×4, first 2 shown]
	v_fmac_f32_e32 v127, 0x3ee1c552, v126
	v_fmac_f32_e32 v106, 0x3ee1c552, v85
	;; [unrolled: 1-line block ×7, first 2 shown]
	v_fmamk_f32 v85, v113, 0xbf955555, v73
	v_fmamk_f32 v88, v114, 0xbf955555, v74
	v_fmac_f32_e32 v139, 0x3ee1c552, v91
	v_fmac_f32_e32 v111, 0x3ee1c552, v91
	;; [unrolled: 1-line block ×3, first 2 shown]
	v_add_f32_e32 v90, v95, v81
	v_add_f32_e32 v91, v96, v82
	v_fmac_f32_e32 v129, 0x3ee1c552, v126
	v_fmac_f32_e32 v131, 0x3ee1c552, v126
	;; [unrolled: 1-line block ×5, first 2 shown]
	v_add_f32_e32 v92, v101, v81
	v_add_f32_e32 v95, v102, v82
	v_add_f32_e32 v93, v93, v81
	v_add_f32_e32 v94, v94, v82
	v_add_f32_e32 v101, v83, v84
	v_add_f32_e32 v102, v103, v89
	v_add_f32_e32 v99, v99, v84
	v_add_f32_e32 v100, v100, v89
	v_add_f32_e32 v97, v104, v84
	v_add_f32_e32 v98, v105, v89
	v_add_f32_e32 v113, v79, v85
	v_add_f32_e32 v114, v80, v88
	v_add_f32_e32 v126, v86, v85
	v_add_f32_e32 v186, v87, v88
	v_add_f32_e32 v195, v109, v85
	v_add_f32_e32 v196, v110, v88
	v_add_f32_e32 v79, v128, v90
	v_sub_f32_e32 v80, v91, v127
	v_add_f32_e32 v81, v133, v93
	v_sub_f32_e32 v82, v94, v131
	v_sub_f32_e32 v83, v92, v130
	v_add_f32_e32 v84, v129, v95
	v_add_f32_e32 v85, v130, v92
	v_sub_f32_e32 v86, v95, v129
	v_sub_f32_e32 v87, v93, v133
	v_add_f32_e32 v88, v131, v94
	v_sub_f32_e32 v89, v90, v128
	v_add_f32_e32 v90, v127, v91
	v_add_f32_e32 v91, v134, v101
	v_sub_f32_e32 v92, v102, v106
	v_add_f32_e32 v93, v138, v99
	v_sub_f32_e32 v94, v100, v137
	v_sub_f32_e32 v95, v97, v136
	v_add_f32_e32 v96, v135, v98
	v_add_f32_e32 v97, v136, v97
	v_sub_f32_e32 v98, v98, v135
	v_sub_f32_e32 v99, v99, v138
	v_add_f32_e32 v100, v137, v100
	v_sub_f32_e32 v101, v101, v134
	v_add_f32_e32 v102, v106, v102
	v_add_f32_e32 v103, v183, v113
	v_sub_f32_e32 v104, v114, v139
	v_add_f32_e32 v105, v185, v195
	v_sub_f32_e32 v106, v196, v184
	v_sub_f32_e32 v107, v126, v112
	v_add_f32_e32 v108, v111, v186
	v_add_f32_e32 v109, v112, v126
	v_sub_f32_e32 v110, v186, v111
	v_sub_f32_e32 v111, v195, v185
	v_add_f32_e32 v112, v184, v196
	v_sub_f32_e32 v113, v113, v183
	v_add_f32_e32 v114, v139, v114
	ds_write2_b64 v187, v[75:76], v[79:80] offset1:91
	ds_write2_b64 v121, v[81:82], v[83:84] offset0:54 offset1:145
	ds_write2_b64 v117, v[85:86], v[87:88] offset0:108 offset1:199
	;; [unrolled: 1-line block ×9, first 2 shown]
	ds_write_b64 v193, v[113:114] offset:14560
	v_add_co_u32 v71, s0, s4, v115
	v_add_co_ci_u32_e64 v73, null, s5, 0, s0
	v_lshlrev_b32_e32 v74, 4, v70
	v_add_co_u32 v70, s0, 0x1000, v71
	v_add_co_ci_u32_e64 v71, s0, 0, v73, s0
	v_add_co_u32 v73, s0, s4, v74
	v_add_co_ci_u32_e64 v74, null, s5, 0, s0
	v_add_nc_u32_e32 v75, 0x1110, v72
	v_add_co_u32 v73, s0, 0x1000, v73
	v_add_nc_u32_e32 v76, 0x16c0, v72
	v_add_co_ci_u32_e64 v74, s0, 0, v74, s0
	v_add_co_u32 v75, s0, s4, v75
	v_add_co_ci_u32_e64 v77, null, s5, 0, s0
	v_add_co_u32 v78, s0, s4, v76
	v_add_co_ci_u32_e64 v79, null, s5, 0, s0
	v_add_co_u32 v75, s0, 0x1000, v75
	v_add_co_ci_u32_e64 v76, s0, 0, v77, s0
	v_add_co_u32 v80, s0, 0x1000, v78
	v_add_nc_u32_e32 v82, 0x1c70, v72
	v_add_co_ci_u32_e64 v81, s0, 0, v79, s0
	v_add_nc_u32_e32 v72, 0x2220, v72
	s_waitcnt lgkmcnt(0)
	s_barrier
	buffer_gl0_inv
	s_clause 0x4
	global_load_dwordx4 v[92:95], v[68:69], off offset:896
	global_load_dwordx4 v[84:87], v[70:71], off offset:896
	;; [unrolled: 1-line block ×5, first 2 shown]
	v_add_co_u32 v73, s0, s4, v82
	v_add_co_ci_u32_e64 v74, null, s5, 0, s0
	v_add_co_u32 v75, s0, s4, v72
	v_add_co_ci_u32_e64 v80, null, s5, 0, s0
	v_add_co_u32 v72, s0, 0x1000, v73
	v_add_co_ci_u32_e64 v73, s0, 0, v74, s0
	v_add_co_u32 v74, s0, 0x1000, v75
	v_add_co_ci_u32_e64 v75, s0, 0, v80, s0
	s_clause 0x1
	global_load_dwordx4 v[80:83], v[72:73], off offset:896
	global_load_dwordx4 v[72:75], v[74:75], off offset:896
	ds_read2_b64 v[100:103], v116 offset0:34 offset1:125
	ds_read2_b64 v[96:99], v124 offset0:122 offset1:213
	;; [unrolled: 1-line block ×5, first 2 shown]
	ds_read2_b64 v[195:198], v187 offset1:91
	ds_read2_b64 v[199:202], v121 offset0:54 offset1:145
	ds_read2_b64 v[104:107], v117 offset0:108 offset1:199
	;; [unrolled: 1-line block ×4, first 2 shown]
	ds_read_b64 v[108:109], v187 offset:14560
	v_add_co_u32 v110, s0, 0x3bb8, v150
	v_add_co_ci_u32_e64 v111, s0, 0, v151, s0
	v_add_co_u32 v183, s0, 0x3800, v150
	v_add_co_ci_u32_e64 v184, s0, 0, v151, s0
	v_add_nc_u32_e32 v123, 0x2800, v187
	v_add_nc_u32_e32 v131, 0x3400, v187
	s_waitcnt vmcnt(6) lgkmcnt(10)
	v_mul_f32_e32 v129, v103, v93
	v_mul_f32_e32 v130, v102, v93
	s_waitcnt lgkmcnt(9)
	v_mul_f32_e32 v137, v97, v95
	v_mul_f32_e32 v138, v96, v95
	s_waitcnt vmcnt(5) lgkmcnt(8)
	v_mul_f32_e32 v139, v113, v85
	v_mul_f32_e32 v185, v112, v85
	v_mul_f32_e32 v186, v99, v87
	v_mul_f32_e32 v211, v98, v87
	s_waitcnt vmcnt(4)
	v_mul_f32_e32 v212, v115, v89
	v_mul_f32_e32 v213, v114, v89
	s_waitcnt lgkmcnt(7)
	v_mul_f32_e32 v214, v126, v91
	v_mul_f32_e32 v215, v125, v91
	s_waitcnt vmcnt(3) lgkmcnt(6)
	v_mul_f32_e32 v216, v134, v77
	v_mul_f32_e32 v217, v133, v77
	v_mul_f32_e32 v218, v128, v79
	v_mul_f32_e32 v219, v127, v79
	s_waitcnt vmcnt(2)
	;; [unrolled: 11-line block ×3, first 2 shown]
	v_mul_f32_e32 v228, v210, v73
	v_mul_f32_e32 v229, v209, v73
	s_waitcnt lgkmcnt(0)
	v_mul_f32_e32 v230, v109, v75
	v_mul_f32_e32 v231, v108, v75
	v_fma_f32 v102, v102, v92, -v129
	v_fmac_f32_e32 v130, v103, v92
	v_fma_f32 v96, v96, v94, -v137
	v_fmac_f32_e32 v138, v97, v94
	;; [unrolled: 2-line block ×14, first 2 shown]
	v_add_f32_e32 v127, v102, v96
	v_add_f32_e32 v129, v130, v138
	;; [unrolled: 1-line block ×8, first 2 shown]
	v_sub_f32_e32 v186, v130, v138
	v_sub_f32_e32 v203, v102, v96
	v_add_f32_e32 v130, v197, v97
	v_sub_f32_e32 v204, v185, v211
	v_add_f32_e32 v136, v199, v99
	v_add_f32_e32 v185, v200, v213
	v_sub_f32_e32 v207, v99, v112
	v_add_f32_e32 v99, v201, v103
	;; [unrolled: 3-line block ×3, first 2 shown]
	v_add_f32_e32 v212, v217, v219
	v_add_f32_e32 v216, v114, v115
	v_sub_f32_e32 v217, v221, v223
	v_add_f32_e32 v218, v105, v221
	v_add_f32_e32 v220, v221, v223
	v_add_f32_e32 v221, v106, v125
	v_add_f32_e32 v222, v125, v139
	v_sub_f32_e32 v224, v225, v227
	v_add_f32_e32 v226, v107, v225
	v_add_f32_e32 v225, v225, v227
	v_sub_f32_e32 v228, v125, v139
	v_add_f32_e32 v230, v100, v126
	v_add_f32_e32 v232, v126, v108
	;; [unrolled: 3-line block ×3, first 2 shown]
	v_sub_f32_e32 v235, v126, v108
	v_fma_f32 v125, -0.5, v127, v195
	v_fma_f32 v126, -0.5, v129, v196
	v_add_f32_e32 v109, v195, v102
	v_sub_f32_e32 v97, v97, v98
	v_sub_f32_e32 v205, v213, v215
	;; [unrolled: 1-line block ×3, first 2 shown]
	v_add_f32_e32 v103, v128, v138
	v_fma_f32 v197, -0.5, v133, v197
	v_add_f32_e32 v128, v134, v211
	v_fmac_f32_e32 v198, -0.5, v135
	v_fma_f32 v133, -0.5, v137, v199
	v_fma_f32 v134, -0.5, v206, v200
	v_add_f32_e32 v214, v104, v114
	v_sub_f32_e32 v114, v114, v115
	v_add_f32_e32 v127, v130, v98
	v_add_f32_e32 v130, v185, v215
	;; [unrolled: 1-line block ×3, first 2 shown]
	v_fma_f32 v201, -0.5, v208, v201
	v_fmac_f32_e32 v202, -0.5, v212
	v_fma_f32 v98, -0.5, v216, v104
	v_fma_f32 v99, -0.5, v220, v105
	;; [unrolled: 1-line block ×3, first 2 shown]
	v_fmac_f32_e32 v107, -0.5, v225
	v_fma_f32 v100, -0.5, v232, v100
	v_fmac_f32_e32 v101, -0.5, v229
	v_fmamk_f32 v185, v186, 0x3f5db3d7, v125
	v_fmac_f32_e32 v125, 0xbf5db3d7, v186
	v_fmamk_f32 v186, v203, 0xbf5db3d7, v126
	v_fmac_f32_e32 v126, 0x3f5db3d7, v203
	v_add_f32_e32 v102, v109, v96
	v_fmamk_f32 v195, v204, 0x3f5db3d7, v197
	v_fmamk_f32 v196, v97, 0xbf5db3d7, v198
	;; [unrolled: 1-line block ×4, first 2 shown]
	v_fmac_f32_e32 v197, 0xbf5db3d7, v204
	v_fmac_f32_e32 v198, 0x3f5db3d7, v97
	;; [unrolled: 1-line block ×4, first 2 shown]
	v_add_f32_e32 v129, v136, v112
	v_add_f32_e32 v136, v210, v219
	;; [unrolled: 1-line block ×8, first 2 shown]
	v_fmamk_f32 v203, v209, 0x3f5db3d7, v201
	v_fmac_f32_e32 v201, 0xbf5db3d7, v209
	v_fmamk_f32 v204, v213, 0xbf5db3d7, v202
	v_fmac_f32_e32 v202, 0x3f5db3d7, v213
	;; [unrolled: 2-line block ×8, first 2 shown]
	ds_write_b64 v187, v[185:186] offset:5096
	ds_write_b64 v187, v[125:126] offset:10192
	ds_write2_b64 v187, v[102:103], v[127:128] offset1:91
	ds_write2_b64 v118, v[195:196], v[199:200] offset0:88 offset1:179
	ds_write2_b64 v123, v[197:198], v[133:134] offset0:85 offset1:176
	;; [unrolled: 1-line block ×6, first 2 shown]
	ds_write_b64 v187, v[104:105] offset:4368
	ds_write2_b64 v120, v[114:115], v[108:109] offset0:68 offset1:159
	ds_write2_b64 v131, v[106:107], v[100:101] offset0:65 offset1:156
	s_waitcnt lgkmcnt(0)
	s_barrier
	buffer_gl0_inv
	s_clause 0x1
	global_load_dwordx2 v[102:103], v[183:184], off offset:952
	global_load_dwordx2 v[125:126], v[110:111], off offset:1176
	v_add_co_u32 v120, s0, 0x4000, v150
	v_add_co_ci_u32_e64 v121, s0, 0, v151, s0
	v_add_co_u32 v122, s0, 0x4800, v150
	v_add_co_ci_u32_e64 v123, s0, 0, v151, s0
	;; [unrolled: 2-line block ×5, first 2 shown]
	s_clause 0x3
	global_load_dwordx2 v[137:138], v[120:121], off offset:1256
	global_load_dwordx2 v[185:186], v[122:123], off offset:384
	;; [unrolled: 1-line block ×4, first 2 shown]
	v_add_co_u32 v120, s0, 0x6800, v150
	v_add_co_ci_u32_e64 v121, s0, 0, v151, s0
	v_add_co_u32 v122, s0, 0x7000, v150
	v_add_co_ci_u32_e64 v123, s0, 0, v151, s0
	s_clause 0x6
	global_load_dwordx2 v[207:208], v[127:128], off offset:1864
	global_load_dwordx2 v[129:130], v[129:130], off offset:992
	;; [unrolled: 1-line block ×7, first 2 shown]
	ds_read2_b64 v[120:123], v187 offset1:147
	s_waitcnt vmcnt(12) lgkmcnt(0)
	v_mul_f32_e32 v128, v121, v103
	v_mul_f32_e32 v127, v120, v103
	s_waitcnt vmcnt(11)
	v_mul_f32_e32 v131, v123, v126
	v_mul_f32_e32 v103, v122, v126
	v_fma_f32 v126, v120, v102, -v128
	v_fmac_f32_e32 v127, v121, v102
	v_fma_f32 v102, v122, v125, -v131
	v_fmac_f32_e32 v103, v123, v125
	ds_write2_b64 v187, v[126:127], v[102:103] offset1:147
	ds_read2_b64 v[120:123], v117 offset0:38 offset1:185
	v_add_nc_u32_e32 v102, 0x1a00, v187
	ds_read2_b64 v[125:128], v116 offset0:76 offset1:223
	ds_read2_b64 v[133:136], v102 offset0:50 offset1:197
	;; [unrolled: 1-line block ×4, first 2 shown]
	ds_read_b64 v[219:220], v187 offset:14112
	s_waitcnt vmcnt(10) lgkmcnt(5)
	v_mul_f32_e32 v103, v121, v138
	v_mul_f32_e32 v131, v120, v138
	s_waitcnt vmcnt(9)
	v_mul_f32_e32 v139, v123, v186
	v_mul_f32_e32 v138, v122, v186
	s_waitcnt vmcnt(8) lgkmcnt(4)
	v_mul_f32_e32 v221, v126, v204
	v_mul_f32_e32 v186, v125, v204
	s_waitcnt vmcnt(7)
	v_mul_f32_e32 v223, v128, v206
	v_mul_f32_e32 v204, v127, v206
	;; [unrolled: 6-line block ×5, first 2 shown]
	s_waitcnt vmcnt(0) lgkmcnt(0)
	v_mul_f32_e32 v230, v220, v218
	v_mul_f32_e32 v216, v219, v218
	v_fma_f32 v130, v120, v137, -v103
	v_fmac_f32_e32 v131, v121, v137
	v_fma_f32 v137, v122, v185, -v139
	v_fmac_f32_e32 v138, v123, v185
	;; [unrolled: 2-line block ×11, first 2 shown]
	ds_write2_b64 v117, v[130:131], v[137:138] offset0:38 offset1:185
	ds_write2_b64 v116, v[185:186], v[203:204] offset0:76 offset1:223
	;; [unrolled: 1-line block ×5, first 2 shown]
	ds_write_b64 v187, v[215:216] offset:14112
	s_and_saveexec_b32 s1, vcc_lo
	s_cbranch_execz .LBB0_9
; %bb.8:
	v_add_co_u32 v120, s0, 0x800, v110
	v_add_co_ci_u32_e64 v121, s0, 0, v111, s0
	v_add_co_u32 v122, s0, 0x1000, v110
	v_add_co_ci_u32_e64 v123, s0, 0, v111, s0
	s_clause 0x3
	global_load_dwordx2 v[129:130], v[110:111], off offset:728
	global_load_dwordx2 v[137:138], v[110:111], off offset:1904
	;; [unrolled: 1-line block ×4, first 2 shown]
	v_add_co_u32 v120, s0, 0x1800, v110
	v_add_co_ci_u32_e64 v121, s0, 0, v111, s0
	v_add_co_u32 v125, s0, 0x2000, v110
	v_add_co_ci_u32_e64 v126, s0, 0, v111, s0
	;; [unrolled: 2-line block ×3, first 2 shown]
	s_clause 0x5
	global_load_dwordx2 v[209:210], v[122:123], off offset:1336
	global_load_dwordx2 v[211:212], v[120:121], off offset:464
	;; [unrolled: 1-line block ×6, first 2 shown]
	v_add_co_u32 v120, s0, 0x3000, v110
	v_add_co_ci_u32_e64 v121, s0, 0, v111, s0
	v_add_co_u32 v110, s0, 0x3800, v110
	v_add_co_ci_u32_e64 v111, s0, 0, v111, s0
	s_clause 0x2
	global_load_dwordx2 v[221:222], v[120:121], off offset:200
	global_load_dwordx2 v[223:224], v[120:121], off offset:1376
	;; [unrolled: 1-line block ×3, first 2 shown]
	ds_read2_b64 v[120:123], v187 offset0:91 offset1:238
	v_add_nc_u32_e32 v103, 0xc00, v187
	v_add_nc_u32_e32 v227, 0x1c00, v187
	;; [unrolled: 1-line block ×3, first 2 shown]
	ds_read2_b64 v[133:136], v118 offset0:39 offset1:186
	ds_read2_b64 v[125:128], v103 offset0:1 offset1:148
	;; [unrolled: 1-line block ×5, first 2 shown]
	ds_read_b64 v[225:226], v187 offset:14840
	s_waitcnt vmcnt(12) lgkmcnt(6)
	v_mul_f32_e32 v229, v121, v130
	v_mul_f32_e32 v131, v120, v130
	s_waitcnt vmcnt(11)
	v_mul_f32_e32 v230, v123, v138
	v_mul_f32_e32 v139, v122, v138
	v_fma_f32 v130, v120, v129, -v229
	v_fmac_f32_e32 v131, v121, v129
	v_fma_f32 v138, v122, v137, -v230
	v_fmac_f32_e32 v139, v123, v137
	s_waitcnt vmcnt(10) lgkmcnt(4)
	v_mul_f32_e32 v120, v126, v186
	v_mul_f32_e32 v121, v125, v186
	s_waitcnt vmcnt(9)
	v_mul_f32_e32 v122, v128, v208
	v_mul_f32_e32 v123, v127, v208
	s_waitcnt vmcnt(8)
	;; [unrolled: 3-line block ×3, first 2 shown]
	v_mul_f32_e32 v230, v136, v212
	v_mul_f32_e32 v186, v135, v212
	s_waitcnt vmcnt(6) lgkmcnt(3)
	v_mul_f32_e32 v231, v196, v214
	v_mul_f32_e32 v137, v195, v214
	s_waitcnt vmcnt(5)
	v_mul_f32_e32 v232, v198, v216
	v_mul_f32_e32 v208, v197, v216
	s_waitcnt vmcnt(4) lgkmcnt(1)
	v_mul_f32_e32 v233, v204, v218
	v_mul_f32_e32 v210, v203, v218
	s_waitcnt vmcnt(3)
	v_mul_f32_e32 v234, v206, v220
	v_mul_f32_e32 v212, v205, v220
	s_waitcnt vmcnt(2)
	;; [unrolled: 3-line block ×3, first 2 shown]
	v_mul_f32_e32 v222, v202, v224
	v_mul_f32_e32 v216, v201, v224
	s_waitcnt vmcnt(0) lgkmcnt(0)
	v_mul_f32_e32 v224, v226, v111
	v_mul_f32_e32 v218, v225, v111
	v_fma_f32 v120, v125, v185, -v120
	v_fmac_f32_e32 v121, v126, v185
	v_fma_f32 v122, v127, v207, -v122
	v_fmac_f32_e32 v123, v128, v207
	;; [unrolled: 2-line block ×10, first 2 shown]
	ds_write2_b64 v187, v[130:131], v[138:139] offset0:91 offset1:238
	v_fma_f32 v217, v225, v110, -v224
	v_fmac_f32_e32 v218, v226, v110
	ds_write2_b64 v103, v[120:121], v[122:123] offset0:1 offset1:148
	ds_write2_b64 v118, v[128:129], v[185:186] offset0:39 offset1:186
	ds_write2_b64 v227, v[136:137], v[207:208] offset0:77 offset1:224
	ds_write2_b64 v228, v[209:210], v[211:212] offset0:51 offset1:198
	ds_write2_b64 v119, v[213:214], v[215:216] offset0:25 offset1:172
	ds_write_b64 v187, v[217:218] offset:14840
.LBB0_9:
	s_or_b32 exec_lo, exec_lo, s1
	s_waitcnt lgkmcnt(0)
	s_barrier
	buffer_gl0_inv
	ds_read2_b64 v[136:139], v187 offset1:147
	ds_read2_b64 v[128:131], v117 offset0:38 offset1:185
	ds_read2_b64 v[120:123], v116 offset0:76 offset1:223
	;; [unrolled: 1-line block ×5, first 2 shown]
	ds_read_b64 v[185:186], v187 offset:14112
	s_and_saveexec_b32 s0, vcc_lo
	s_cbranch_execz .LBB0_11
; %bb.10:
	v_add_nc_u32_e32 v36, 0x1c00, v187
	v_add_nc_u32_e32 v37, 0x1400, v187
	;; [unrolled: 1-line block ×3, first 2 shown]
	ds_read2_b64 v[108:111], v36 offset0:77 offset1:224
	v_add_nc_u32_e32 v36, 0x2600, v187
	ds_read2_b64 v[102:105], v37 offset0:39 offset1:186
	v_add_nc_u32_e32 v37, 0x3000, v187
	ds_read2_b64 v[96:99], v187 offset0:91 offset1:238
	ds_read_b64 v[181:182], v187 offset:14840
	ds_read2_b64 v[112:115], v38 offset0:1 offset1:148
	ds_read2_b64 v[40:43], v36 offset0:51 offset1:198
	;; [unrolled: 1-line block ×3, first 2 shown]
	s_waitcnt lgkmcnt(6)
	v_mov_b32_e32 v100, v110
	v_mov_b32_e32 v101, v111
	s_waitcnt lgkmcnt(5)
	v_mov_b32_e32 v106, v102
	v_mov_b32_e32 v107, v103
.LBB0_11:
	s_or_b32 exec_lo, exec_lo, s0
	s_waitcnt lgkmcnt(6)
	v_add_f32_e32 v103, v137, v139
	v_add_f32_e32 v102, v136, v138
	s_waitcnt lgkmcnt(0)
	v_sub_f32_e32 v111, v139, v186
	v_add_f32_e32 v110, v185, v138
	v_add_f32_e32 v139, v186, v139
	;; [unrolled: 1-line block ×4, first 2 shown]
	v_mul_f32_e32 v195, 0xbeedf032, v111
	v_sub_f32_e32 v214, v129, v135
	v_sub_f32_e32 v138, v138, v185
	v_add_f32_e32 v103, v103, v131
	v_add_f32_e32 v102, v102, v130
	v_mul_f32_e32 v196, 0x3f62ad3f, v139
	v_mul_f32_e32 v197, 0xbf52af12, v111
	;; [unrolled: 1-line block ×3, first 2 shown]
	v_add_f32_e32 v103, v103, v121
	v_add_f32_e32 v102, v102, v120
	v_mul_f32_e32 v199, 0xbf7e222b, v111
	v_mul_f32_e32 v200, 0x3df6dbef, v139
	;; [unrolled: 1-line block ×3, first 2 shown]
	v_add_f32_e32 v103, v103, v123
	v_add_f32_e32 v102, v102, v122
	v_fmamk_f32 v202, v110, 0x3f62ad3f, v195
	v_mul_f32_e32 v209, 0xbf29c268, v111
	v_mul_f32_e32 v210, 0xbf3f9e67, v139
	v_add_f32_e32 v103, v103, v117
	v_add_f32_e32 v102, v102, v116
	v_mul_f32_e32 v111, 0xbe750f2a, v111
	v_add_f32_e32 v216, v134, v128
	v_mul_f32_e32 v217, 0xbf52af12, v214
	v_add_f32_e32 v103, v103, v119
	v_add_f32_e32 v102, v102, v118
	;; [unrolled: 1-line block ×3, first 2 shown]
	v_fmamk_f32 v203, v138, 0x3eedf032, v196
	v_fma_f32 v195, 0x3f62ad3f, v110, -v195
	v_add_f32_e32 v103, v103, v125
	v_add_f32_e32 v102, v102, v124
	v_fmac_f32_e32 v196, 0xbeedf032, v138
	v_fmamk_f32 v204, v110, 0x3f116cb1, v197
	v_fmamk_f32 v205, v138, 0x3f52af12, v198
	v_add_f32_e32 v103, v103, v127
	v_add_f32_e32 v102, v102, v126
	v_fma_f32 v197, 0x3f116cb1, v110, -v197
	v_fmac_f32_e32 v198, 0xbf52af12, v138
	v_fmamk_f32 v206, v110, 0x3df6dbef, v199
	v_add_f32_e32 v103, v103, v133
	v_add_f32_e32 v102, v102, v132
	v_fmamk_f32 v207, v138, 0x3f7e222b, v200
	v_fma_f32 v199, 0x3df6dbef, v110, -v199
	v_fmac_f32_e32 v200, 0xbf7e222b, v138
	v_add_f32_e32 v103, v103, v135
	v_add_f32_e32 v102, v102, v134
	;; [unrolled: 1-line block ×3, first 2 shown]
	v_fmamk_f32 v211, v110, 0xbf3f9e67, v209
	v_fmamk_f32 v212, v138, 0x3f29c268, v210
	v_add_f32_e32 v103, v103, v186
	v_mul_f32_e32 v186, 0xbeb58ec6, v139
	v_mul_f32_e32 v139, 0xbf788fa5, v139
	v_add_f32_e32 v102, v102, v185
	v_fmamk_f32 v185, v110, 0xbeb58ec6, v201
	v_fma_f32 v201, 0xbeb58ec6, v110, -v201
	v_fmamk_f32 v208, v138, 0x3f6f5d39, v186
	v_fmac_f32_e32 v186, 0xbf6f5d39, v138
	v_fma_f32 v209, 0xbf3f9e67, v110, -v209
	v_fmac_f32_e32 v210, 0xbf29c268, v138
	v_fmamk_f32 v213, v110, 0xbf788fa5, v111
	v_fmamk_f32 v215, v138, 0x3e750f2a, v139
	v_fma_f32 v110, 0xbf788fa5, v110, -v111
	v_fmac_f32_e32 v139, 0xbe750f2a, v138
	v_sub_f32_e32 v111, v128, v134
	v_fmamk_f32 v128, v216, 0x3f116cb1, v217
	v_mul_f32_e32 v134, 0x3f116cb1, v129
	v_add_f32_e32 v203, v137, v203
	v_add_f32_e32 v195, v136, v195
	;; [unrolled: 1-line block ×24, first 2 shown]
	v_fmamk_f32 v137, v111, 0x3f52af12, v134
	v_mul_f32_e32 v138, 0xbf6f5d39, v214
	v_fma_f32 v139, 0x3f116cb1, v216, -v217
	v_fmac_f32_e32 v134, 0xbf52af12, v111
	v_mul_f32_e32 v202, 0xbeb58ec6, v129
	v_add_f32_e32 v137, v137, v203
	v_fmamk_f32 v203, v216, 0xbeb58ec6, v138
	v_add_f32_e32 v139, v139, v195
	v_add_f32_e32 v134, v134, v196
	v_fmamk_f32 v195, v111, 0x3f6f5d39, v202
	v_mul_f32_e32 v196, 0xbe750f2a, v214
	v_add_f32_e32 v203, v203, v204
	v_fma_f32 v138, 0xbeb58ec6, v216, -v138
	v_fmac_f32_e32 v202, 0xbf6f5d39, v111
	v_add_f32_e32 v195, v195, v205
	v_fmamk_f32 v204, v216, 0xbf788fa5, v196
	v_mul_f32_e32 v205, 0xbf788fa5, v129
	v_add_f32_e32 v138, v138, v197
	v_add_f32_e32 v197, v202, v198
	v_mul_f32_e32 v198, 0x3f29c268, v214
	v_add_f32_e32 v202, v204, v206
	v_fmamk_f32 v204, v111, 0x3e750f2a, v205
	v_fma_f32 v196, 0xbf788fa5, v216, -v196
	v_fmac_f32_e32 v205, 0xbe750f2a, v111
	v_mul_f32_e32 v215, 0xbf3f9e67, v129
	v_fmamk_f32 v206, v216, 0xbf3f9e67, v198
	v_add_f32_e32 v204, v204, v207
	v_add_f32_e32 v196, v196, v199
	;; [unrolled: 1-line block ×3, first 2 shown]
	v_fmamk_f32 v200, v111, 0xbf29c268, v215
	v_mul_f32_e32 v205, 0x3f7e222b, v214
	v_add_f32_e32 v185, v206, v185
	v_fma_f32 v198, 0xbf3f9e67, v216, -v198
	v_mul_f32_e32 v206, 0x3df6dbef, v129
	v_add_f32_e32 v200, v200, v208
	v_fmamk_f32 v207, v216, 0x3df6dbef, v205
	v_mul_f32_e32 v208, 0x3eedf032, v214
	v_fma_f32 v205, 0x3df6dbef, v216, -v205
	v_add_f32_e32 v198, v198, v201
	v_fmamk_f32 v201, v111, 0xbf7e222b, v206
	v_add_f32_e32 v207, v207, v211
	v_fmac_f32_e32 v206, 0x3f7e222b, v111
	v_fmamk_f32 v211, v216, 0x3f62ad3f, v208
	v_add_f32_e32 v205, v205, v209
	v_sub_f32_e32 v209, v131, v133
	v_add_f32_e32 v201, v201, v212
	v_mul_f32_e32 v129, 0x3f62ad3f, v129
	v_add_f32_e32 v206, v206, v210
	v_add_f32_e32 v210, v211, v213
	;; [unrolled: 1-line block ×3, first 2 shown]
	v_mul_f32_e32 v213, 0xbf7e222b, v209
	v_add_f32_e32 v131, v133, v131
	v_fmac_f32_e32 v215, 0x3f29c268, v111
	v_fmamk_f32 v211, v111, 0xbeedf032, v129
	v_fma_f32 v133, 0x3f62ad3f, v216, -v208
	v_fmac_f32_e32 v129, 0x3eedf032, v111
	v_sub_f32_e32 v111, v130, v132
	v_fmamk_f32 v130, v212, 0x3df6dbef, v213
	v_mul_f32_e32 v132, 0x3df6dbef, v131
	v_add_f32_e32 v110, v133, v110
	v_add_f32_e32 v129, v129, v136
	v_mul_f32_e32 v133, 0xbe750f2a, v209
	v_add_f32_e32 v128, v130, v128
	v_fmamk_f32 v130, v111, 0x3f7e222b, v132
	v_fma_f32 v136, 0x3df6dbef, v212, -v213
	v_fmac_f32_e32 v132, 0xbf7e222b, v111
	v_mul_f32_e32 v208, 0xbf788fa5, v131
	v_add_f32_e32 v135, v211, v135
	v_add_f32_e32 v130, v130, v137
	v_fmamk_f32 v137, v212, 0xbf788fa5, v133
	v_add_f32_e32 v136, v136, v139
	v_add_f32_e32 v132, v132, v134
	v_fmamk_f32 v134, v111, 0x3e750f2a, v208
	v_mul_f32_e32 v139, 0x3f6f5d39, v209
	v_add_f32_e32 v137, v137, v203
	v_mul_f32_e32 v203, 0xbeb58ec6, v131
	v_mul_f32_e32 v211, 0x3f62ad3f, v131
	v_add_f32_e32 v134, v134, v195
	v_fmamk_f32 v195, v212, 0xbeb58ec6, v139
	v_fma_f32 v139, 0xbeb58ec6, v212, -v139
	v_fma_f32 v133, 0xbf788fa5, v212, -v133
	v_fmac_f32_e32 v208, 0xbe750f2a, v111
	v_add_f32_e32 v186, v215, v186
	v_add_f32_e32 v195, v195, v202
	v_fmamk_f32 v202, v111, 0xbf6f5d39, v203
	v_fmac_f32_e32 v203, 0x3f6f5d39, v111
	v_add_f32_e32 v139, v139, v196
	v_add_f32_e32 v133, v133, v138
	;; [unrolled: 1-line block ×3, first 2 shown]
	v_mul_f32_e32 v197, 0x3eedf032, v209
	v_add_f32_e32 v196, v203, v199
	v_fmamk_f32 v199, v111, 0xbeedf032, v211
	v_mul_f32_e32 v203, 0xbf52af12, v209
	v_add_f32_e32 v202, v202, v204
	v_fmamk_f32 v208, v212, 0x3f62ad3f, v197
	v_fma_f32 v197, 0x3f62ad3f, v212, -v197
	v_add_f32_e32 v199, v199, v200
	v_fmamk_f32 v200, v212, 0x3f116cb1, v203
	v_fma_f32 v203, 0x3f116cb1, v212, -v203
	v_mul_f32_e32 v204, 0x3f116cb1, v131
	v_add_f32_e32 v185, v208, v185
	v_add_f32_e32 v197, v197, v198
	v_mul_f32_e32 v208, 0xbf29c268, v209
	v_add_f32_e32 v203, v203, v205
	v_sub_f32_e32 v205, v121, v127
	v_fmamk_f32 v198, v111, 0x3f52af12, v204
	v_add_f32_e32 v200, v200, v207
	v_fmac_f32_e32 v204, 0xbf52af12, v111
	v_mul_f32_e32 v131, 0xbf3f9e67, v131
	v_add_f32_e32 v207, v126, v120
	v_mul_f32_e32 v209, 0xbf6f5d39, v205
	v_add_f32_e32 v121, v127, v121
	v_fmac_f32_e32 v211, 0x3eedf032, v111
	v_add_f32_e32 v204, v204, v206
	v_fmamk_f32 v206, v111, 0x3f29c268, v131
	v_fma_f32 v127, 0xbf3f9e67, v212, -v208
	v_fmac_f32_e32 v131, 0xbf29c268, v111
	v_sub_f32_e32 v111, v120, v126
	v_fmamk_f32 v120, v207, 0xbeb58ec6, v209
	v_mul_f32_e32 v126, 0xbeb58ec6, v121
	v_add_f32_e32 v135, v206, v135
	v_add_f32_e32 v110, v127, v110
	v_add_f32_e32 v127, v131, v129
	v_add_f32_e32 v120, v120, v128
	v_fmamk_f32 v128, v111, 0x3f6f5d39, v126
	v_mul_f32_e32 v129, 0x3f29c268, v205
	v_fma_f32 v131, 0xbeb58ec6, v207, -v209
	v_fmac_f32_e32 v126, 0xbf6f5d39, v111
	v_mul_f32_e32 v206, 0xbf3f9e67, v121
	v_add_f32_e32 v128, v128, v130
	v_fmamk_f32 v130, v207, 0xbf3f9e67, v129
	v_add_f32_e32 v131, v131, v136
	v_add_f32_e32 v126, v126, v132
	v_fmamk_f32 v132, v111, 0xbf29c268, v206
	v_mul_f32_e32 v136, 0x3eedf032, v205
	v_fma_f32 v129, 0xbf3f9e67, v207, -v129
	v_fmac_f32_e32 v206, 0x3f29c268, v111
	v_add_f32_e32 v130, v130, v137
	v_add_f32_e32 v132, v132, v134
	v_fmamk_f32 v134, v207, 0x3f62ad3f, v136
	v_mul_f32_e32 v137, 0x3f62ad3f, v121
	v_add_f32_e32 v129, v129, v133
	v_add_f32_e32 v133, v206, v138
	v_mul_f32_e32 v138, 0xbf7e222b, v205
	v_add_f32_e32 v198, v198, v201
	v_fmamk_f32 v201, v212, 0xbf3f9e67, v208
	v_add_f32_e32 v134, v134, v195
	v_fmamk_f32 v195, v111, 0xbeedf032, v137
	v_fma_f32 v136, 0x3f62ad3f, v207, -v136
	v_fmac_f32_e32 v137, 0x3eedf032, v111
	v_fmamk_f32 v206, v207, 0x3df6dbef, v138
	v_mul_f32_e32 v208, 0x3df6dbef, v121
	v_add_f32_e32 v195, v195, v202
	v_add_f32_e32 v136, v136, v139
	;; [unrolled: 1-line block ×4, first 2 shown]
	v_fmamk_f32 v185, v111, 0x3f7e222b, v208
	v_mul_f32_e32 v196, 0x3e750f2a, v205
	v_fma_f32 v138, 0x3df6dbef, v207, -v138
	v_mul_f32_e32 v202, 0xbf788fa5, v121
	v_mul_f32_e32 v205, 0x3f52af12, v205
	v_add_f32_e32 v185, v185, v199
	v_fmamk_f32 v199, v207, 0xbf788fa5, v196
	v_add_f32_e32 v138, v138, v197
	v_fmamk_f32 v197, v111, 0xbe750f2a, v202
	v_fma_f32 v196, 0xbf788fa5, v207, -v196
	v_fmac_f32_e32 v202, 0x3e750f2a, v111
	v_add_f32_e32 v199, v199, v200
	v_sub_f32_e32 v200, v123, v125
	v_add_f32_e32 v201, v201, v210
	v_add_f32_e32 v197, v197, v198
	v_fmamk_f32 v198, v207, 0x3f116cb1, v205
	v_mul_f32_e32 v121, 0x3f116cb1, v121
	v_add_f32_e32 v196, v196, v203
	v_add_f32_e32 v202, v202, v204
	;; [unrolled: 1-line block ×3, first 2 shown]
	v_mul_f32_e32 v204, 0xbf29c268, v200
	v_add_f32_e32 v123, v125, v123
	v_fmac_f32_e32 v208, 0xbf7e222b, v111
	v_add_f32_e32 v198, v198, v201
	v_fmamk_f32 v201, v111, 0xbf52af12, v121
	v_fma_f32 v125, 0x3f116cb1, v207, -v205
	v_fmac_f32_e32 v121, 0x3f52af12, v111
	v_sub_f32_e32 v111, v122, v124
	v_fmamk_f32 v122, v203, 0xbf3f9e67, v204
	v_mul_f32_e32 v124, 0xbf3f9e67, v123
	v_add_f32_e32 v135, v201, v135
	v_add_f32_e32 v110, v125, v110
	;; [unrolled: 1-line block ×4, first 2 shown]
	v_fmamk_f32 v122, v111, 0x3f29c268, v124
	v_mul_f32_e32 v125, 0x3f7e222b, v200
	v_fma_f32 v127, 0xbf3f9e67, v203, -v204
	v_fmac_f32_e32 v124, 0xbf29c268, v111
	v_mul_f32_e32 v201, 0x3df6dbef, v123
	v_add_f32_e32 v122, v122, v128
	v_fmamk_f32 v128, v203, 0x3df6dbef, v125
	v_add_f32_e32 v127, v127, v131
	v_add_f32_e32 v124, v124, v126
	v_fmamk_f32 v126, v111, 0xbf7e222b, v201
	v_mul_f32_e32 v131, 0xbf52af12, v200
	v_fma_f32 v125, 0x3df6dbef, v203, -v125
	v_fmac_f32_e32 v201, 0x3f7e222b, v111
	v_add_f32_e32 v128, v128, v130
	v_add_f32_e32 v126, v126, v132
	v_fmamk_f32 v130, v203, 0x3f116cb1, v131
	v_mul_f32_e32 v132, 0x3f116cb1, v123
	v_add_f32_e32 v125, v125, v129
	v_add_f32_e32 v129, v201, v133
	v_mul_f32_e32 v133, 0x3e750f2a, v200
	v_add_f32_e32 v130, v130, v134
	v_fmamk_f32 v134, v111, 0x3f52af12, v132
	v_fma_f32 v131, 0x3f116cb1, v203, -v131
	v_fmac_f32_e32 v132, 0xbf52af12, v111
	v_fmamk_f32 v201, v203, 0xbf788fa5, v133
	v_mul_f32_e32 v204, 0xbf788fa5, v123
	v_add_f32_e32 v134, v134, v195
	v_add_f32_e32 v131, v131, v136
	;; [unrolled: 1-line block ×4, first 2 shown]
	v_fmamk_f32 v137, v111, 0xbe750f2a, v204
	v_mul_f32_e32 v139, 0x3eedf032, v200
	v_fma_f32 v133, 0xbf788fa5, v203, -v133
	v_mul_f32_e32 v195, 0x3f62ad3f, v123
	v_mul_f32_e32 v200, 0xbf6f5d39, v200
	v_add_f32_e32 v137, v137, v185
	v_fmamk_f32 v185, v203, 0x3f62ad3f, v139
	v_fma_f32 v139, 0x3f62ad3f, v203, -v139
	v_add_f32_e32 v133, v133, v138
	v_fmamk_f32 v138, v111, 0xbeedf032, v195
	v_fmac_f32_e32 v195, 0x3eedf032, v111
	v_add_f32_e32 v185, v185, v199
	v_add_f32_e32 v139, v139, v196
	v_sub_f32_e32 v196, v117, v119
	v_add_f32_e32 v138, v138, v197
	v_fmamk_f32 v197, v203, 0xbeb58ec6, v200
	v_mul_f32_e32 v123, 0xbeb58ec6, v123
	v_add_f32_e32 v195, v195, v202
	v_add_f32_e32 v199, v118, v116
	v_mul_f32_e32 v201, 0xbe750f2a, v196
	v_add_f32_e32 v202, v119, v117
	v_fmac_f32_e32 v204, 0x3e750f2a, v111
	v_add_f32_e32 v197, v197, v198
	v_fmamk_f32 v198, v111, 0x3f6f5d39, v123
	v_fma_f32 v117, 0xbeb58ec6, v203, -v200
	v_fmac_f32_e32 v123, 0xbf6f5d39, v111
	v_sub_f32_e32 v200, v116, v118
	v_fmamk_f32 v111, v199, 0xbf788fa5, v201
	v_mul_f32_e32 v118, 0xbf788fa5, v202
	v_add_f32_e32 v135, v198, v135
	v_add_f32_e32 v198, v117, v110
	;; [unrolled: 1-line block ×4, first 2 shown]
	v_fmamk_f32 v111, v200, 0x3e750f2a, v118
	v_mul_f32_e32 v119, 0x3eedf032, v196
	v_mul_f32_e32 v121, 0x3f62ad3f, v202
	v_fma_f32 v116, 0xbf788fa5, v199, -v201
	v_fmac_f32_e32 v118, 0xbe750f2a, v200
	v_add_f32_e32 v111, v111, v122
	v_fmamk_f32 v120, v199, 0x3f62ad3f, v119
	v_fmamk_f32 v122, v200, 0xbeedf032, v121
	v_add_f32_e32 v116, v116, v127
	v_add_f32_e32 v117, v118, v124
	v_mul_f32_e32 v123, 0xbf29c268, v196
	v_add_f32_e32 v118, v120, v128
	v_fma_f32 v120, 0x3f62ad3f, v199, -v119
	v_fmac_f32_e32 v121, 0x3eedf032, v200
	v_add_f32_e32 v119, v122, v126
	v_mul_f32_e32 v126, 0xbf3f9e67, v202
	v_mul_f32_e32 v127, 0x3f52af12, v196
	v_fmamk_f32 v122, v199, 0xbf3f9e67, v123
	v_add_f32_e32 v120, v120, v125
	v_add_f32_e32 v121, v121, v129
	v_fmamk_f32 v124, v200, 0x3f29c268, v126
	v_fma_f32 v125, 0xbf3f9e67, v199, -v123
	v_fmac_f32_e32 v126, 0xbf29c268, v200
	v_fmamk_f32 v128, v199, 0x3f116cb1, v127
	v_mul_f32_e32 v129, 0x3f116cb1, v202
	v_add_f32_e32 v122, v122, v130
	v_add_f32_e32 v123, v124, v134
	v_add_f32_e32 v124, v125, v131
	v_add_f32_e32 v125, v126, v132
	v_add_f32_e32 v126, v128, v136
	v_fmamk_f32 v128, v200, 0xbf52af12, v129
	v_mul_f32_e32 v130, 0xbf6f5d39, v196
	v_fma_f32 v131, 0x3f116cb1, v199, -v127
	v_mul_f32_e32 v134, 0xbeb58ec6, v202
	v_add_f32_e32 v186, v211, v186
	v_add_f32_e32 v127, v128, v137
	v_fmamk_f32 v132, v199, 0xbeb58ec6, v130
	v_add_f32_e32 v128, v131, v133
	v_fmamk_f32 v131, v200, 0x3f6f5d39, v134
	v_fma_f32 v133, 0xbeb58ec6, v199, -v130
	v_mul_f32_e32 v136, 0x3f7e222b, v196
	v_mul_f32_e32 v137, 0x3df6dbef, v202
	v_add_f32_e32 v186, v208, v186
	v_add_f32_e32 v130, v132, v185
	;; [unrolled: 1-line block ×4, first 2 shown]
	v_fmac_f32_e32 v134, 0xbf6f5d39, v200
	v_fmamk_f32 v138, v199, 0x3df6dbef, v136
	v_fmamk_f32 v139, v200, 0xbf7e222b, v137
	v_fma_f32 v136, 0x3df6dbef, v199, -v136
	v_fmac_f32_e32 v137, 0x3f7e222b, v200
	v_add_f32_e32 v186, v204, v186
	v_fmac_f32_e32 v129, 0x3f52af12, v200
	v_add_f32_e32 v133, v134, v195
	v_add_f32_e32 v134, v138, v197
	;; [unrolled: 1-line block ×6, first 2 shown]
	s_barrier
	buffer_gl0_inv
	ds_write2_b64 v194, v[102:103], v[110:111] offset1:1
	ds_write2_b64 v194, v[118:119], v[122:123] offset0:2 offset1:3
	ds_write2_b64 v194, v[126:127], v[130:131] offset0:4 offset1:5
	ds_write2_b64 v194, v[134:135], v[136:137] offset0:6 offset1:7
	ds_write2_b64 v194, v[132:133], v[128:129] offset0:8 offset1:9
	ds_write2_b64 v194, v[124:125], v[120:121] offset0:10 offset1:11
	ds_write_b64 v194, v[116:117] offset:96
	s_and_saveexec_b32 s0, vcc_lo
	s_cbranch_execz .LBB0_13
; %bb.12:
	v_add_f32_e32 v122, v99, v97
	v_add_f32_e32 v123, v98, v96
	v_sub_f32_e32 v119, v98, v181
	v_add_f32_e32 v127, v181, v98
	v_add_f32_e32 v124, v182, v99
	;; [unrolled: 1-line block ×4, first 2 shown]
	v_sub_f32_e32 v103, v112, v38
	v_sub_f32_e32 v110, v114, v36
	v_add_f32_e32 v117, v43, v107
	v_add_f32_e32 v122, v115, v122
	;; [unrolled: 1-line block ×3, first 2 shown]
	v_sub_f32_e32 v126, v99, v182
	v_add_f32_e32 v99, v38, v112
	v_add_f32_e32 v112, v36, v114
	;; [unrolled: 1-line block ×4, first 2 shown]
	v_sub_f32_e32 v114, v107, v43
	v_sub_f32_e32 v123, v109, v101
	v_add_f32_e32 v121, v41, v105
	v_add_f32_e32 v107, v105, v98
	v_add_f32_e32 v129, v104, v122
	v_add_f32_e32 v122, v101, v109
	v_sub_f32_e32 v120, v104, v40
	v_sub_f32_e32 v98, v108, v100
	v_add_f32_e32 v109, v109, v107
	v_add_f32_e32 v129, v108, v129
	;; [unrolled: 1-line block ×7, first 2 shown]
	v_sub_f32_e32 v129, v105, v41
	v_add_f32_e32 v100, v40, v104
	v_mul_f32_e32 v118, 0xbf788fa5, v124
	v_add_f32_e32 v41, v41, v101
	v_add_f32_e32 v40, v40, v109
	v_sub_f32_e32 v113, v113, v39
	v_sub_f32_e32 v115, v115, v37
	v_mul_f32_e32 v128, 0xbe750f2a, v126
	v_add_f32_e32 v41, v43, v41
	v_add_f32_e32 v40, v42, v40
	v_mul_f32_e32 v132, 0x3df6dbef, v124
	v_fmamk_f32 v125, v119, 0x3e750f2a, v118
	v_fmamk_f32 v108, v127, 0xbf788fa5, v128
	v_add_f32_e32 v37, v37, v41
	v_add_f32_e32 v36, v36, v40
	v_mul_f32_e32 v40, 0xbf7e222b, v126
	v_mul_f32_e32 v41, 0x3f116cb1, v124
	;; [unrolled: 1-line block ×6, first 2 shown]
	v_fmamk_f32 v133, v119, 0x3f7e222b, v132
	v_mul_f32_e32 v124, 0x3f62ad3f, v124
	v_add_f32_e32 v37, v39, v37
	v_add_f32_e32 v36, v38, v36
	v_fmamk_f32 v38, v127, 0x3df6dbef, v40
	v_fmamk_f32 v39, v119, 0x3f52af12, v41
	v_mul_f32_e32 v134, 0xbf52af12, v126
	v_mul_f32_e32 v126, 0xbeedf032, v126
	;; [unrolled: 1-line block ×4, first 2 shown]
	v_sub_f32_e32 v102, v106, v42
	v_add_f32_e32 v106, v42, v106
	v_fmamk_f32 v104, v119, 0x3f29c268, v130
	v_fmamk_f32 v105, v127, 0xbf3f9e67, v131
	;; [unrolled: 1-line block ×5, first 2 shown]
	v_fmac_f32_e32 v118, 0xbe750f2a, v119
	v_fmac_f32_e32 v130, 0xbf29c268, v119
	;; [unrolled: 1-line block ×6, first 2 shown]
	v_fmamk_f32 v119, v127, 0x3f116cb1, v134
	v_fma_f32 v128, 0xbf788fa5, v127, -v128
	v_fma_f32 v131, 0xbf3f9e67, v127, -v131
	;; [unrolled: 1-line block ×5, first 2 shown]
	v_fmamk_f32 v136, v127, 0x3f62ad3f, v126
	v_fma_f32 v126, 0x3f62ad3f, v127, -v126
	v_add_f32_e32 v125, v97, v125
	v_add_f32_e32 v108, v96, v108
	;; [unrolled: 1-line block ×5, first 2 shown]
	v_mul_f32_e32 v195, 0xbf3f9e67, v116
	v_fmamk_f32 v38, v103, 0xbeedf032, v186
	v_fmamk_f32 v39, v99, 0x3f62ad3f, v194
	v_mul_f32_e32 v196, 0xbf29c268, v115
	v_add_f32_e32 v139, v96, v40
	v_add_f32_e32 v185, v97, v41
	v_mul_f32_e32 v197, 0x3f116cb1, v117
	v_fmamk_f32 v40, v110, 0x3f29c268, v195
	v_add_f32_e32 v38, v38, v125
	v_add_f32_e32 v39, v39, v108
	v_fmamk_f32 v41, v112, 0xbf3f9e67, v196
	v_mul_f32_e32 v125, 0x3f52af12, v114
	v_add_f32_e32 v105, v96, v105
	v_add_f32_e32 v43, v96, v43
	;; [unrolled: 1-line block ×10, first 2 shown]
	v_fmamk_f32 v96, v102, 0xbf52af12, v197
	v_add_f32_e32 v38, v40, v38
	v_add_f32_e32 v39, v41, v39
	v_mul_f32_e32 v182, 0xbeb58ec6, v121
	v_fmamk_f32 v40, v106, 0x3f116cb1, v125
	v_mul_f32_e32 v198, 0xbf6f5d39, v129
	v_add_f32_e32 v36, v181, v36
	v_add_f32_e32 v38, v96, v38
	v_fmamk_f32 v41, v120, 0x3f6f5d39, v182
	v_add_f32_e32 v39, v40, v39
	v_fmamk_f32 v40, v100, 0xbeb58ec6, v198
	v_mul_f32_e32 v181, 0x3df6dbef, v122
	v_mul_f32_e32 v199, 0x3f7e222b, v123
	v_add_f32_e32 v38, v41, v38
	v_mul_f32_e32 v200, 0x3df6dbef, v111
	v_add_f32_e32 v40, v40, v39
	v_fmamk_f32 v39, v98, 0xbf7e222b, v181
	v_fmamk_f32 v41, v107, 0x3df6dbef, v199
	v_add_f32_e32 v104, v97, v104
	v_mul_f32_e32 v201, 0x3f116cb1, v116
	v_mul_f32_e32 v202, 0xbf788fa5, v117
	v_add_f32_e32 v39, v39, v38
	v_add_f32_e32 v38, v41, v40
	v_fmamk_f32 v40, v103, 0xbf7e222b, v200
	v_fmamk_f32 v41, v110, 0x3f52af12, v201
	v_mul_f32_e32 v203, 0x3f7e222b, v113
	v_mul_f32_e32 v204, 0x3f62ad3f, v121
	;; [unrolled: 1-line block ×3, first 2 shown]
	v_add_f32_e32 v40, v40, v104
	v_mul_f32_e32 v206, 0x3e750f2a, v114
	v_mul_f32_e32 v207, 0x3eedf032, v129
	v_fmamk_f32 v96, v120, 0xbeedf032, v204
	v_mul_f32_e32 v208, 0xbeb58ec6, v122
	v_add_f32_e32 v40, v41, v40
	v_fmamk_f32 v41, v102, 0xbe750f2a, v202
	v_mul_f32_e32 v209, 0xbf6f5d39, v123
	v_mul_f32_e32 v210, 0xbf3f9e67, v111
	v_add_f32_e32 v42, v97, v42
	v_mul_f32_e32 v211, 0x3f62ad3f, v116
	v_add_f32_e32 v40, v41, v40
	v_fmamk_f32 v41, v99, 0x3df6dbef, v203
	v_mul_f32_e32 v212, 0x3df6dbef, v117
	v_mul_f32_e32 v213, 0x3f29c268, v113
	;; [unrolled: 1-line block ×3, first 2 shown]
	v_add_f32_e32 v40, v96, v40
	v_add_f32_e32 v41, v41, v105
	v_fmamk_f32 v96, v112, 0x3f116cb1, v205
	v_mul_f32_e32 v215, 0x3eedf032, v115
	v_mul_f32_e32 v216, 0xbf7e222b, v114
	;; [unrolled: 1-line block ×4, first 2 shown]
	v_add_f32_e32 v41, v96, v41
	v_fmamk_f32 v96, v106, 0xbf788fa5, v206
	v_mul_f32_e32 v219, 0x3f52af12, v123
	v_mul_f32_e32 v220, 0xbf788fa5, v111
	v_add_f32_e32 v135, v97, v135
	v_add_f32_e32 v118, v97, v118
	;; [unrolled: 1-line block ×3, first 2 shown]
	v_fmamk_f32 v96, v100, 0x3f62ad3f, v207
	v_add_f32_e32 v130, v97, v130
	v_add_f32_e32 v101, v97, v101
	;; [unrolled: 1-line block ×5, first 2 shown]
	v_fmamk_f32 v41, v98, 0x3f6f5d39, v208
	v_mul_f32_e32 v221, 0x3f62ad3f, v117
	v_mul_f32_e32 v222, 0xbe750f2a, v113
	v_mul_f32_e32 v223, 0x3f6f5d39, v115
	v_mul_f32_e32 v224, 0x3eedf032, v114
	v_add_f32_e32 v41, v41, v40
	v_fmamk_f32 v40, v107, 0xbeb58ec6, v209
	v_mul_f32_e32 v225, 0xbf52af12, v129
	v_mul_f32_e32 v226, 0xbf3f9e67, v122
	v_mul_f32_e32 v227, 0xbf29c268, v123
	v_mul_f32_e32 v228, 0xbeb58ec6, v111
	v_add_f32_e32 v40, v40, v96
	;; [unrolled: 6-line block ×5, first 2 shown]
	v_fmamk_f32 v96, v99, 0xbf3f9e67, v213
	v_mul_f32_e32 v129, 0xbf29c268, v129
	v_mul_f32_e32 v240, 0xbf788fa5, v122
	;; [unrolled: 1-line block ×3, first 2 shown]
	v_fmac_f32_e32 v186, 0x3eedf032, v103
	v_add_f32_e32 v43, v96, v43
	v_fmamk_f32 v96, v120, 0xbe750f2a, v214
	v_fma_f32 v114, 0x3f62ad3f, v99, -v194
	v_fmac_f32_e32 v195, 0xbf29c268, v110
	v_fma_f32 v115, 0xbf3f9e67, v112, -v196
	v_fmac_f32_e32 v197, 0x3f52af12, v102
	v_add_f32_e32 v42, v96, v42
	v_fmamk_f32 v96, v112, 0x3f62ad3f, v215
	v_add_f32_e32 v114, v114, v128
	v_fmac_f32_e32 v182, 0xbf6f5d39, v120
	v_fmac_f32_e32 v181, 0x3f7e222b, v98
	;; [unrolled: 1-line block ×3, first 2 shown]
	v_add_f32_e32 v43, v96, v43
	v_fmamk_f32 v96, v106, 0x3df6dbef, v216
	v_add_f32_e32 v114, v115, v114
	v_fma_f32 v115, 0x3f116cb1, v106, -v125
	v_fmac_f32_e32 v201, 0xbf52af12, v110
	v_fma_f32 v117, 0x3f116cb1, v112, -v205
	v_add_f32_e32 v43, v96, v43
	v_fmamk_f32 v96, v100, 0xbf788fa5, v217
	v_add_f32_e32 v114, v115, v114
	v_fma_f32 v115, 0xbeb58ec6, v100, -v198
	v_fmac_f32_e32 v202, 0x3e750f2a, v102
	v_fmac_f32_e32 v204, 0x3eedf032, v120
	v_add_f32_e32 v96, v96, v43
	v_fmamk_f32 v43, v98, 0xbf52af12, v218
	v_add_f32_e32 v115, v115, v114
	v_fmac_f32_e32 v208, 0xbf6f5d39, v98
	v_fmac_f32_e32 v210, 0x3f29c268, v103
	;; [unrolled: 1-line block ×3, first 2 shown]
	v_add_f32_e32 v43, v43, v42
	v_fmamk_f32 v42, v107, 0x3f116cb1, v219
	v_fmac_f32_e32 v212, 0xbf7e222b, v102
	v_add_f32_e32 v101, v210, v101
	v_fma_f32 v122, 0xbeb58ec6, v112, -v223
	v_fmac_f32_e32 v214, 0x3e750f2a, v120
	v_add_f32_e32 v42, v42, v96
	v_fmamk_f32 v96, v103, 0x3e750f2a, v220
	v_fmac_f32_e32 v220, 0xbe750f2a, v103
	v_add_f32_e32 v101, v211, v101
	v_fmac_f32_e32 v218, 0x3f52af12, v98
	v_fma_f32 v128, 0x3f116cb1, v107, -v219
	v_add_f32_e32 v96, v96, v127
	v_mul_f32_e32 v127, 0xbeb58ec6, v116
	v_add_f32_e32 v101, v212, v101
	v_fmamk_f32 v97, v110, 0xbf6f5d39, v127
	v_fmac_f32_e32 v127, 0x3f6f5d39, v110
	v_add_f32_e32 v101, v214, v101
	v_add_f32_e32 v96, v97, v96
	v_fmamk_f32 v97, v102, 0xbeedf032, v221
	v_fmac_f32_e32 v221, 0x3eedf032, v102
	v_add_f32_e32 v96, v97, v96
	v_fmamk_f32 v97, v99, 0xbf788fa5, v222
	v_add_f32_e32 v97, v97, v133
	v_mul_f32_e32 v133, 0x3f116cb1, v121
	v_fmamk_f32 v104, v120, 0x3f52af12, v133
	v_fmac_f32_e32 v133, 0xbf52af12, v120
	v_add_f32_e32 v96, v104, v96
	v_fmamk_f32 v104, v112, 0xbeb58ec6, v223
	v_add_f32_e32 v97, v104, v97
	v_fmamk_f32 v104, v106, 0x3f62ad3f, v224
	;; [unrolled: 2-line block ×4, first 2 shown]
	v_fmac_f32_e32 v226, 0xbf29c268, v98
	v_add_f32_e32 v97, v97, v96
	v_fmamk_f32 v96, v107, 0xbf3f9e67, v227
	v_add_f32_e32 v96, v96, v104
	v_fmamk_f32 v104, v103, 0x3f6f5d39, v228
	v_fmac_f32_e32 v228, 0xbf6f5d39, v103
	v_add_f32_e32 v104, v104, v137
	v_mul_f32_e32 v137, 0xbf788fa5, v116
	v_fmamk_f32 v105, v110, 0x3e750f2a, v137
	v_fmac_f32_e32 v137, 0xbe750f2a, v110
	v_add_f32_e32 v104, v105, v104
	v_fmamk_f32 v105, v102, 0xbf29c268, v229
	v_fmac_f32_e32 v229, 0x3f29c268, v102
	v_add_f32_e32 v104, v105, v104
	v_fmamk_f32 v105, v99, 0xbeb58ec6, v230
	v_add_f32_e32 v105, v105, v119
	v_mul_f32_e32 v119, 0x3df6dbef, v121
	v_fmamk_f32 v108, v120, 0xbf7e222b, v119
	v_fmac_f32_e32 v119, 0x3f7e222b, v120
	v_add_f32_e32 v104, v108, v104
	v_fmamk_f32 v108, v112, 0xbf788fa5, v231
	v_add_f32_e32 v105, v108, v105
	v_fmamk_f32 v108, v106, 0xbf3f9e67, v232
	;; [unrolled: 2-line block ×4, first 2 shown]
	v_fmac_f32_e32 v234, 0x3eedf032, v98
	v_add_f32_e32 v105, v105, v104
	v_fmamk_f32 v104, v107, 0x3f62ad3f, v235
	v_add_f32_e32 v104, v104, v108
	v_fmamk_f32 v108, v103, 0x3f52af12, v111
	v_fmac_f32_e32 v111, 0xbf52af12, v103
	v_fma_f32 v103, 0xbf788fa5, v112, -v231
	v_add_f32_e32 v108, v108, v135
	v_mul_f32_e32 v135, 0x3df6dbef, v116
	v_fma_f32 v116, 0x3df6dbef, v107, -v199
	v_add_f32_e32 v111, v111, v124
	v_fmamk_f32 v109, v110, 0x3f7e222b, v135
	v_fmac_f32_e32 v135, 0xbf7e222b, v110
	v_fma_f32 v110, 0x3df6dbef, v112, -v238
	v_add_f32_e32 v108, v109, v108
	v_fmamk_f32 v109, v102, 0x3f6f5d39, v236
	v_add_f32_e32 v111, v135, v111
	v_fmac_f32_e32 v236, 0xbf6f5d39, v102
	v_fma_f32 v102, 0xbeb58ec6, v106, -v239
	v_add_f32_e32 v108, v109, v108
	v_fmamk_f32 v109, v99, 0x3f116cb1, v237
	v_add_f32_e32 v109, v109, v136
	v_mul_f32_e32 v136, 0xbf3f9e67, v121
	v_fma_f32 v121, 0xbf788fa5, v99, -v222
	v_fmamk_f32 v113, v120, 0x3f29c268, v136
	v_add_f32_e32 v121, v121, v139
	v_fmac_f32_e32 v136, 0xbf29c268, v120
	v_add_f32_e32 v108, v113, v108
	v_fmamk_f32 v113, v112, 0x3df6dbef, v238
	v_add_f32_e32 v121, v122, v121
	v_fma_f32 v122, 0x3f62ad3f, v106, -v224
	v_add_f32_e32 v109, v113, v109
	v_fmamk_f32 v113, v106, 0xbeb58ec6, v239
	v_add_f32_e32 v121, v122, v121
	v_add_f32_e32 v109, v113, v109
	v_fmamk_f32 v113, v100, 0xbf3f9e67, v129
	v_add_f32_e32 v113, v113, v109
	v_fmamk_f32 v109, v98, 0x3e750f2a, v240
	v_fmac_f32_e32 v240, 0xbe750f2a, v98
	v_add_f32_e32 v109, v109, v108
	v_fmamk_f32 v108, v107, 0xbf788fa5, v123
	v_add_f32_e32 v108, v108, v113
	v_add_f32_e32 v113, v186, v118
	v_fma_f32 v118, 0xbeb58ec6, v107, -v209
	v_add_f32_e32 v113, v195, v113
	v_add_f32_e32 v113, v197, v113
	;; [unrolled: 1-line block ×5, first 2 shown]
	v_fma_f32 v116, 0x3df6dbef, v99, -v203
	v_add_f32_e32 v115, v200, v130
	v_add_f32_e32 v116, v116, v131
	;; [unrolled: 1-line block ×4, first 2 shown]
	v_fma_f32 v117, 0xbf788fa5, v106, -v206
	v_add_f32_e32 v115, v202, v115
	v_add_f32_e32 v116, v117, v116
	v_fma_f32 v117, 0x3f62ad3f, v100, -v207
	v_add_f32_e32 v115, v204, v115
	v_add_f32_e32 v117, v117, v116
	;; [unrolled: 1-line block ×4, first 2 shown]
	v_fma_f32 v117, 0xbf3f9e67, v99, -v213
	v_fma_f32 v118, 0x3f62ad3f, v112, -v215
	v_add_f32_e32 v117, v117, v138
	v_add_f32_e32 v117, v118, v117
	v_fma_f32 v118, 0x3df6dbef, v106, -v216
	v_add_f32_e32 v117, v118, v117
	v_fma_f32 v118, 0xbf788fa5, v100, -v217
	v_add_f32_e32 v117, v118, v117
	v_add_f32_e32 v118, v220, v132
	;; [unrolled: 1-line block ×4, first 2 shown]
	v_fma_f32 v127, 0x3f116cb1, v100, -v225
	v_add_f32_e32 v118, v221, v118
	v_add_f32_e32 v122, v133, v118
	;; [unrolled: 1-line block ×7, first 2 shown]
	v_fma_f32 v121, 0xbf3f9e67, v107, -v227
	v_add_f32_e32 v125, v229, v125
	v_add_f32_e32 v121, v121, v101
	v_fma_f32 v101, 0xbeb58ec6, v99, -v230
	v_fma_f32 v99, 0x3f116cb1, v99, -v237
	v_add_f32_e32 v119, v119, v125
	v_add_f32_e32 v101, v101, v134
	v_add_f32_e32 v99, v99, v126
	v_add_f32_e32 v101, v103, v101
	v_fma_f32 v103, 0xbf3f9e67, v106, -v232
	v_add_f32_e32 v99, v110, v99
	v_add_f32_e32 v106, v236, v111
	v_add_f32_e32 v101, v103, v101
	v_fma_f32 v103, 0x3df6dbef, v100, -v233
	v_add_f32_e32 v99, v102, v99
	v_fma_f32 v100, 0xbf3f9e67, v100, -v129
	v_fma_f32 v102, 0x3f62ad3f, v107, -v235
	v_add_f32_e32 v101, v103, v101
	v_add_f32_e32 v103, v136, v106
	;; [unrolled: 1-line block ×3, first 2 shown]
	v_fma_f32 v106, 0xbf788fa5, v107, -v123
	v_lshlrev_b32_e32 v107, 3, v189
	v_add_f32_e32 v99, v234, v119
	v_add_f32_e32 v98, v102, v101
	;; [unrolled: 1-line block ×4, first 2 shown]
	ds_write2_b64 v107, v[36:37], v[108:109] offset1:1
	ds_write2_b64 v107, v[104:105], v[96:97] offset0:2 offset1:3
	ds_write2_b64 v107, v[42:43], v[40:41] offset0:4 offset1:5
	;; [unrolled: 1-line block ×5, first 2 shown]
	ds_write_b64 v107, v[100:101] offset:96
.LBB0_13:
	s_or_b32 exec_lo, exec_lo, s0
	v_add_nc_u32_e32 v43, 0x400, v187
	v_add_nc_u32_e32 v40, 0x1000, v187
	;; [unrolled: 1-line block ×4, first 2 shown]
	s_waitcnt lgkmcnt(0)
	s_barrier
	buffer_gl0_inv
	ds_read2_b64 v[97:100], v43 offset0:54 offset1:145
	ds_read2_b64 v[101:104], v40 offset0:34 offset1:125
	;; [unrolled: 1-line block ×3, first 2 shown]
	ds_read2_b64 v[109:112], v187 offset1:91
	v_add_nc_u32_e32 v39, 0x2400, v187
	v_add_nc_u32_e32 v36, 0x3000, v187
	;; [unrolled: 1-line block ×3, first 2 shown]
	ds_read2_b64 v[113:116], v42 offset0:68 offset1:159
	v_add_nc_u32_e32 v96, 0x1800, v187
	v_add_nc_u32_e32 v38, 0x2c00, v187
	ds_read2_b64 v[117:120], v39 offset0:122 offset1:213
	ds_read_b64 v[137:138], v187 offset:14560
	ds_read2_b64 v[121:124], v36 offset0:102 offset1:193
	ds_read2_b64 v[125:128], v41 offset0:108 offset1:199
	;; [unrolled: 1-line block ×4, first 2 shown]
	s_waitcnt lgkmcnt(0)
	s_barrier
	buffer_gl0_inv
	s_mov_b32 s4, 0xa36ec936
	s_mov_b32 s5, 0x3f4125a4
	s_mul_hi_u32 s1, s8, 0x93
	v_mul_f32_e32 v139, v33, v100
	v_mul_f32_e32 v33, v33, v99
	;; [unrolled: 1-line block ×6, first 2 shown]
	v_fmac_f32_e32 v139, v32, v99
	v_fma_f32 v32, v32, v100, -v33
	v_fmac_f32_e32 v181, v34, v101
	v_fma_f32 v33, v34, v102, -v35
	;; [unrolled: 2-line block ×3, first 2 shown]
	v_mul_f32_e32 v29, v31, v114
	v_mul_f32_e32 v31, v31, v113
	;; [unrolled: 1-line block ×7, first 2 shown]
	v_fmac_f32_e32 v29, v30, v113
	v_fma_f32 v30, v30, v114, -v31
	v_fmac_f32_e32 v34, v24, v119
	v_fma_f32 v24, v24, v120, -v25
	v_mul_f32_e32 v25, v27, v121
	v_mul_f32_e32 v27, v21, v126
	;; [unrolled: 1-line block ×5, first 2 shown]
	v_fmac_f32_e32 v99, v8, v127
	v_fma_f32 v100, v8, v128, -v9
	v_mul_f32_e32 v101, v11, v106
	v_mul_f32_e32 v8, v11, v105
	;; [unrolled: 1-line block ×4, first 2 shown]
	v_fmac_f32_e32 v35, v26, v121
	v_fma_f32 v25, v26, v122, -v25
	v_fmac_f32_e32 v27, v20, v125
	v_fma_f32 v20, v20, v126, -v21
	v_fma_f32 v21, v22, v104, -v23
	v_fmac_f32_e32 v101, v10, v105
	v_fma_f32 v104, v10, v106, -v8
	v_fmac_f32_e32 v102, v4, v131
	v_fma_f32 v105, v4, v132, -v5
	v_mul_f32_e32 v4, v7, v117
	v_mul_f32_e32 v106, v1, v136
	;; [unrolled: 1-line block ×3, first 2 shown]
	v_fmac_f32_e32 v31, v22, v103
	v_mul_f32_e32 v22, v17, v130
	v_mul_f32_e32 v17, v17, v129
	;; [unrolled: 1-line block ×9, first 2 shown]
	v_fma_f32 v108, v6, v118, -v4
	v_fmac_f32_e32 v106, v0, v135
	v_fma_f32 v113, v0, v136, -v1
	v_add_f32_e32 v0, v139, v35
	v_add_f32_e32 v1, v32, v25
	;; [unrolled: 1-line block ×4, first 2 shown]
	v_fmac_f32_e32 v22, v16, v129
	v_fma_f32 v16, v16, v130, -v17
	v_fmac_f32_e32 v23, v18, v115
	v_fma_f32 v17, v18, v116, -v19
	v_fmac_f32_e32 v26, v12, v133
	v_mul_f32_e32 v18, v15, v124
	v_mul_f32_e32 v15, v15, v123
	v_fma_f32 v19, v12, v134, -v13
	v_fmac_f32_e32 v103, v6, v117
	v_fmac_f32_e32 v107, v2, v137
	v_fma_f32 v114, v2, v138, -v3
	v_sub_f32_e32 v2, v139, v35
	v_sub_f32_e32 v3, v32, v25
	;; [unrolled: 1-line block ×4, first 2 shown]
	v_add_f32_e32 v8, v182, v29
	v_add_f32_e32 v9, v28, v30
	v_sub_f32_e32 v10, v29, v182
	v_sub_f32_e32 v11, v30, v28
	v_add_f32_e32 v12, v4, v0
	v_add_f32_e32 v13, v5, v1
	v_fmac_f32_e32 v18, v14, v123
	v_fma_f32 v14, v14, v124, -v15
	v_sub_f32_e32 v15, v4, v0
	v_sub_f32_e32 v24, v5, v1
	;; [unrolled: 1-line block ×6, first 2 shown]
	v_add_f32_e32 v0, v10, v6
	v_add_f32_e32 v1, v11, v7
	v_sub_f32_e32 v29, v10, v6
	v_sub_f32_e32 v30, v11, v7
	v_sub_f32_e32 v6, v6, v2
	v_add_f32_e32 v8, v8, v12
	v_add_f32_e32 v9, v9, v13
	v_sub_f32_e32 v7, v7, v3
	v_sub_f32_e32 v10, v2, v10
	;; [unrolled: 1-line block ×3, first 2 shown]
	v_add_f32_e32 v2, v0, v2
	v_add_f32_e32 v3, v1, v3
	;; [unrolled: 1-line block ×4, first 2 shown]
	v_mul_f32_e32 v12, 0x3f4a47b2, v25
	v_mul_f32_e32 v13, 0x3f4a47b2, v28
	;; [unrolled: 1-line block ×8, first 2 shown]
	v_fmamk_f32 v8, v8, 0xbf955555, v0
	v_fmamk_f32 v9, v9, 0xbf955555, v1
	;; [unrolled: 1-line block ×4, first 2 shown]
	v_fma_f32 v25, 0x3f3bfb3b, v15, -v25
	v_fma_f32 v28, 0x3f3bfb3b, v24, -v28
	;; [unrolled: 1-line block ×4, first 2 shown]
	v_fmamk_f32 v15, v10, 0xbeae86e6, v29
	v_fmamk_f32 v24, v11, 0xbeae86e6, v30
	v_fma_f32 v29, 0xbf5ff5aa, v6, -v29
	v_fma_f32 v30, 0xbf5ff5aa, v7, -v30
	;; [unrolled: 1-line block ×4, first 2 shown]
	v_add_f32_e32 v33, v4, v8
	v_add_f32_e32 v34, v5, v9
	;; [unrolled: 1-line block ×6, first 2 shown]
	v_fmac_f32_e32 v15, 0xbee1c552, v2
	v_fmac_f32_e32 v24, 0xbee1c552, v3
	v_fmac_f32_e32 v29, 0xbee1c552, v2
	v_fmac_f32_e32 v10, 0xbee1c552, v3
	v_fmac_f32_e32 v32, 0xbee1c552, v2
	v_fmac_f32_e32 v30, 0xbee1c552, v3
	v_add_f32_e32 v2, v24, v33
	v_sub_f32_e32 v3, v34, v15
	v_add_f32_e32 v4, v10, v12
	v_sub_f32_e32 v5, v13, v32
	v_sub_f32_e32 v6, v11, v30
	v_add_f32_e32 v7, v29, v25
	v_add_f32_e32 v8, v30, v11
	v_sub_f32_e32 v9, v25, v29
	v_sub_f32_e32 v10, v12, v10
	v_add_f32_e32 v11, v32, v13
	v_sub_f32_e32 v12, v33, v24
	v_add_f32_e32 v13, v15, v34
	v_add_f32_e32 v15, v27, v18
	;; [unrolled: 1-line block ×3, first 2 shown]
	v_sub_f32_e32 v14, v20, v14
	v_add_f32_e32 v20, v31, v26
	v_add_f32_e32 v25, v21, v19
	v_sub_f32_e32 v18, v27, v18
	v_sub_f32_e32 v26, v31, v26
	;; [unrolled: 1-line block ×3, first 2 shown]
	v_add_f32_e32 v21, v22, v23
	v_add_f32_e32 v27, v16, v17
	v_sub_f32_e32 v22, v23, v22
	v_sub_f32_e32 v16, v17, v16
	v_add_f32_e32 v17, v20, v15
	v_add_f32_e32 v23, v25, v24
	v_sub_f32_e32 v28, v20, v15
	v_sub_f32_e32 v29, v25, v24
	;; [unrolled: 1-line block ×6, first 2 shown]
	v_add_f32_e32 v15, v22, v26
	v_add_f32_e32 v31, v16, v19
	v_sub_f32_e32 v32, v22, v26
	v_sub_f32_e32 v33, v16, v19
	v_sub_f32_e32 v26, v26, v18
	v_add_f32_e32 v17, v21, v17
	v_add_f32_e32 v21, v27, v23
	v_sub_f32_e32 v19, v19, v14
	v_sub_f32_e32 v22, v18, v22
	;; [unrolled: 1-line block ×3, first 2 shown]
	v_add_f32_e32 v18, v15, v18
	v_add_f32_e32 v23, v31, v14
	;; [unrolled: 1-line block ×4, first 2 shown]
	v_mul_f32_e32 v27, 0x3f4a47b2, v30
	v_mul_f32_e32 v24, 0x3f4a47b2, v24
	;; [unrolled: 1-line block ×8, first 2 shown]
	v_fmamk_f32 v17, v17, 0xbf955555, v14
	v_fmamk_f32 v21, v21, 0xbf955555, v15
	;; [unrolled: 1-line block ×4, first 2 shown]
	v_fma_f32 v30, 0x3f3bfb3b, v28, -v30
	v_fma_f32 v31, 0x3f3bfb3b, v29, -v31
	;; [unrolled: 1-line block ×4, first 2 shown]
	v_fmamk_f32 v28, v22, 0xbeae86e6, v32
	v_fmamk_f32 v29, v16, 0xbeae86e6, v33
	v_fma_f32 v26, 0xbf5ff5aa, v26, -v32
	v_fma_f32 v32, 0xbf5ff5aa, v19, -v33
	;; [unrolled: 1-line block ×4, first 2 shown]
	v_add_f32_e32 v35, v20, v17
	v_add_f32_e32 v109, v25, v21
	;; [unrolled: 1-line block ×6, first 2 shown]
	v_fmac_f32_e32 v28, 0xbee1c552, v18
	v_fmac_f32_e32 v29, 0xbee1c552, v23
	;; [unrolled: 1-line block ×6, first 2 shown]
	v_add_f32_e32 v16, v29, v35
	v_sub_f32_e32 v17, v109, v28
	v_add_f32_e32 v18, v34, v27
	v_sub_f32_e32 v19, v30, v33
	v_sub_f32_e32 v20, v22, v32
	v_add_f32_e32 v21, v26, v25
	v_add_f32_e32 v22, v32, v22
	v_sub_f32_e32 v23, v25, v26
	v_sub_f32_e32 v24, v27, v34
	v_add_f32_e32 v25, v33, v30
	v_sub_f32_e32 v26, v35, v29
	v_add_f32_e32 v27, v28, v109
	v_add_f32_e32 v28, v99, v107
	;; [unrolled: 1-line block ×5, first 2 shown]
	v_sub_f32_e32 v30, v99, v107
	v_sub_f32_e32 v31, v100, v114
	;; [unrolled: 1-line block ×4, first 2 shown]
	v_add_f32_e32 v99, v102, v103
	v_add_f32_e32 v100, v105, v108
	v_sub_f32_e32 v101, v103, v102
	v_sub_f32_e32 v102, v108, v105
	v_add_f32_e32 v103, v32, v28
	v_add_f32_e32 v104, v33, v29
	v_sub_f32_e32 v105, v32, v28
	v_sub_f32_e32 v106, v33, v29
	;; [unrolled: 1-line block ×6, first 2 shown]
	v_add_f32_e32 v28, v101, v34
	v_add_f32_e32 v29, v102, v35
	v_sub_f32_e32 v109, v101, v34
	v_sub_f32_e32 v110, v102, v35
	;; [unrolled: 1-line block ×3, first 2 shown]
	v_add_f32_e32 v99, v99, v103
	v_add_f32_e32 v100, v100, v104
	v_sub_f32_e32 v35, v35, v31
	v_sub_f32_e32 v101, v30, v101
	;; [unrolled: 1-line block ×3, first 2 shown]
	v_add_f32_e32 v30, v28, v30
	v_add_f32_e32 v31, v29, v31
	;; [unrolled: 1-line block ×4, first 2 shown]
	v_mul_f32_e32 v97, 0x3f4a47b2, v107
	v_mul_f32_e32 v98, 0x3f4a47b2, v108
	;; [unrolled: 1-line block ×8, first 2 shown]
	v_fmamk_f32 v99, v99, 0xbf955555, v28
	v_fmamk_f32 v100, v100, 0xbf955555, v29
	;; [unrolled: 1-line block ×4, first 2 shown]
	v_fma_f32 v103, 0x3f3bfb3b, v105, -v103
	v_fma_f32 v104, 0x3f3bfb3b, v106, -v104
	;; [unrolled: 1-line block ×4, first 2 shown]
	v_fmamk_f32 v105, v101, 0xbeae86e6, v107
	v_fmamk_f32 v106, v102, 0xbeae86e6, v108
	v_fma_f32 v107, 0xbf5ff5aa, v34, -v107
	v_fma_f32 v108, 0xbf5ff5aa, v35, -v108
	;; [unrolled: 1-line block ×4, first 2 shown]
	v_add_f32_e32 v109, v32, v99
	v_add_f32_e32 v110, v33, v100
	v_add_f32_e32 v103, v103, v99
	v_add_f32_e32 v104, v104, v100
	v_add_f32_e32 v99, v97, v99
	v_add_f32_e32 v100, v98, v100
	v_fmac_f32_e32 v105, 0xbee1c552, v30
	v_fmac_f32_e32 v106, 0xbee1c552, v31
	;; [unrolled: 1-line block ×6, first 2 shown]
	v_add_f32_e32 v30, v106, v109
	v_sub_f32_e32 v31, v110, v105
	v_add_f32_e32 v32, v102, v99
	v_sub_f32_e32 v33, v100, v101
	v_sub_f32_e32 v34, v103, v108
	v_add_f32_e32 v35, v107, v104
	v_add_f32_e32 v97, v108, v103
	v_sub_f32_e32 v98, v104, v107
	v_sub_f32_e32 v99, v99, v102
	v_add_f32_e32 v100, v101, v100
	v_sub_f32_e32 v101, v109, v106
	v_add_f32_e32 v102, v105, v110
	ds_write2_b64 v192, v[0:1], v[2:3] offset1:13
	ds_write2_b64 v192, v[4:5], v[6:7] offset0:26 offset1:39
	ds_write2_b64 v192, v[8:9], v[10:11] offset0:52 offset1:65
	ds_write_b64 v192, v[12:13] offset:624
	ds_write2_b64 v191, v[14:15], v[16:17] offset1:13
	ds_write2_b64 v191, v[18:19], v[20:21] offset0:26 offset1:39
	ds_write2_b64 v191, v[22:23], v[24:25] offset0:52 offset1:65
	ds_write_b64 v191, v[26:27] offset:624
	;; [unrolled: 4-line block ×3, first 2 shown]
	s_waitcnt lgkmcnt(0)
	s_barrier
	buffer_gl0_inv
	ds_read2_b64 v[0:3], v43 offset0:54 offset1:145
	ds_read2_b64 v[4:7], v40 offset0:34 offset1:125
	;; [unrolled: 1-line block ×4, first 2 shown]
	ds_read2_b64 v[16:19], v187 offset1:91
	ds_read2_b64 v[20:23], v39 offset0:122 offset1:213
	ds_read2_b64 v[24:27], v36 offset0:102 offset1:193
	;; [unrolled: 1-line block ×5, first 2 shown]
	ds_read_b64 v[101:102], v187 offset:14560
	s_waitcnt lgkmcnt(0)
	s_barrier
	buffer_gl0_inv
	v_mul_f32_e32 v103, v65, v3
	v_mul_f32_e32 v104, v67, v5
	;; [unrolled: 1-line block ×5, first 2 shown]
	v_fmac_f32_e32 v103, v64, v2
	v_mul_f32_e32 v2, v65, v2
	v_fmac_f32_e32 v104, v66, v4
	v_fmac_f32_e32 v106, v60, v10
	v_fma_f32 v4, v60, v11, -v107
	v_mul_f32_e32 v10, v63, v12
	v_fma_f32 v2, v64, v3, -v2
	v_fma_f32 v3, v66, v5, -v105
	v_mul_f32_e32 v5, v63, v13
	v_mul_f32_e32 v11, v57, v23
	;; [unrolled: 1-line block ×4, first 2 shown]
	v_fma_f32 v10, v62, v13, -v10
	v_fmac_f32_e32 v5, v62, v12
	v_fmac_f32_e32 v11, v56, v22
	v_fma_f32 v12, v56, v23, -v105
	v_fmac_f32_e32 v107, v58, v24
	v_mul_f32_e32 v13, v59, v24
	v_mul_f32_e32 v22, v65, v29
	v_mul_f32_e32 v23, v65, v28
	v_mul_f32_e32 v24, v67, v7
	v_mul_f32_e32 v65, v67, v6
	v_fma_f32 v13, v58, v25, -v13
	v_fmac_f32_e32 v22, v64, v28
	v_fma_f32 v23, v64, v29, -v23
	v_fmac_f32_e32 v24, v66, v6
	v_fma_f32 v25, v66, v7, -v65
	v_mul_f32_e32 v28, v61, v33
	v_mul_f32_e32 v6, v61, v32
	;; [unrolled: 1-line block ×5, first 2 shown]
	v_fmac_f32_e32 v28, v60, v32
	v_fma_f32 v32, v60, v33, -v6
	v_fmac_f32_e32 v29, v62, v14
	v_fma_f32 v33, v62, v15, -v7
	v_mul_f32_e32 v6, v57, v97
	v_mul_f32_e32 v57, v59, v27
	;; [unrolled: 1-line block ×5, first 2 shown]
	v_fma_f32 v53, v56, v98, -v6
	v_fmac_f32_e32 v57, v58, v26
	v_fma_f32 v26, v58, v27, -v7
	v_fmac_f32_e32 v59, v52, v30
	v_fma_f32 v30, v52, v31, -v14
	v_mul_f32_e32 v31, v55, v9
	v_mul_f32_e32 v6, v55, v8
	;; [unrolled: 1-line block ×5, first 2 shown]
	v_fmac_f32_e32 v31, v54, v8
	v_fma_f32 v54, v54, v9, -v6
	v_fmac_f32_e32 v52, v48, v34
	v_fma_f32 v34, v48, v35, -v7
	v_mul_f32_e32 v6, v51, v20
	v_mul_f32_e32 v35, v45, v100
	;; [unrolled: 1-line block ×5, first 2 shown]
	v_fma_f32 v47, v50, v21, -v6
	v_fmac_f32_e32 v35, v44, v99
	v_fma_f32 v44, v44, v100, -v7
	v_add_f32_e32 v6, v103, v107
	v_add_f32_e32 v7, v2, v13
	v_sub_f32_e32 v2, v2, v13
	v_add_f32_e32 v9, v104, v11
	v_add_f32_e32 v13, v3, v12
	v_sub_f32_e32 v11, v104, v11
	v_sub_f32_e32 v3, v3, v12
	v_add_f32_e32 v12, v106, v5
	v_add_f32_e32 v14, v4, v10
	v_sub_f32_e32 v5, v5, v106
	v_sub_f32_e32 v4, v10, v4
	v_add_f32_e32 v10, v9, v6
	v_add_f32_e32 v15, v13, v7
	v_fmac_f32_e32 v49, v50, v20
	v_fmac_f32_e32 v45, v46, v101
	v_fma_f32 v46, v46, v102, -v8
	v_sub_f32_e32 v8, v103, v107
	v_sub_f32_e32 v20, v9, v6
	;; [unrolled: 1-line block ×7, first 2 shown]
	v_add_f32_e32 v27, v5, v11
	v_add_f32_e32 v48, v4, v3
	v_sub_f32_e32 v50, v5, v11
	v_sub_f32_e32 v51, v4, v3
	v_add_f32_e32 v10, v12, v10
	v_add_f32_e32 v12, v14, v15
	v_sub_f32_e32 v14, v3, v2
	v_sub_f32_e32 v5, v8, v5
	;; [unrolled: 1-line block ×4, first 2 shown]
	v_add_f32_e32 v8, v27, v8
	v_add_f32_e32 v15, v48, v2
	;; [unrolled: 1-line block ×4, first 2 shown]
	v_mul_f32_e32 v6, 0x3f4a47b2, v6
	v_mul_f32_e32 v7, 0x3f4a47b2, v7
	;; [unrolled: 1-line block ×8, first 2 shown]
	v_fmamk_f32 v10, v10, 0xbf955555, v2
	v_fmamk_f32 v12, v12, 0xbf955555, v3
	v_fmamk_f32 v9, v9, 0x3d64c772, v6
	v_fmamk_f32 v13, v13, 0x3d64c772, v7
	v_fma_f32 v16, 0x3f3bfb3b, v20, -v16
	v_fma_f32 v17, 0x3f3bfb3b, v21, -v17
	;; [unrolled: 1-line block ×4, first 2 shown]
	v_fmamk_f32 v20, v5, 0xbeae86e6, v27
	v_fmamk_f32 v21, v4, 0xbeae86e6, v48
	v_fma_f32 v11, 0xbf5ff5aa, v11, -v27
	v_fma_f32 v14, 0xbf5ff5aa, v14, -v48
	;; [unrolled: 1-line block ×3, first 2 shown]
	v_fmac_f32_e32 v61, v56, v97
	v_fma_f32 v27, 0x3eae86e6, v5, -v50
	v_add_f32_e32 v50, v9, v10
	v_add_f32_e32 v51, v13, v12
	;; [unrolled: 1-line block ×5, first 2 shown]
	v_fmac_f32_e32 v20, 0xbee1c552, v8
	v_fmac_f32_e32 v21, 0xbee1c552, v15
	;; [unrolled: 1-line block ×5, first 2 shown]
	v_add_f32_e32 v55, v7, v12
	v_fmac_f32_e32 v27, 0xbee1c552, v8
	v_add_f32_e32 v4, v21, v50
	v_sub_f32_e32 v5, v51, v20
	v_add_f32_e32 v6, v48, v17
	v_sub_f32_e32 v8, v13, v14
	v_add_f32_e32 v9, v11, v16
	v_add_f32_e32 v10, v14, v13
	v_sub_f32_e32 v11, v16, v11
	v_sub_f32_e32 v12, v17, v48
	;; [unrolled: 1-line block ×3, first 2 shown]
	v_add_f32_e32 v15, v20, v51
	v_add_f32_e32 v16, v22, v57
	;; [unrolled: 1-line block ×3, first 2 shown]
	v_sub_f32_e32 v20, v22, v57
	v_sub_f32_e32 v21, v23, v26
	v_add_f32_e32 v22, v24, v61
	v_add_f32_e32 v23, v25, v53
	v_sub_f32_e32 v7, v55, v27
	v_add_f32_e32 v13, v27, v55
	v_sub_f32_e32 v24, v24, v61
	v_sub_f32_e32 v25, v25, v53
	v_add_f32_e32 v26, v28, v29
	v_add_f32_e32 v27, v32, v33
	v_sub_f32_e32 v28, v29, v28
	v_sub_f32_e32 v29, v33, v32
	v_add_f32_e32 v32, v22, v16
	v_add_f32_e32 v33, v23, v17
	v_sub_f32_e32 v48, v22, v16
	v_sub_f32_e32 v50, v23, v17
	;; [unrolled: 1-line block ×6, first 2 shown]
	v_add_f32_e32 v16, v28, v24
	v_add_f32_e32 v17, v29, v25
	v_sub_f32_e32 v55, v28, v24
	v_sub_f32_e32 v56, v29, v25
	v_add_f32_e32 v26, v26, v32
	v_add_f32_e32 v27, v27, v33
	v_sub_f32_e32 v25, v25, v21
	v_sub_f32_e32 v28, v20, v28
	;; [unrolled: 1-line block ×4, first 2 shown]
	v_add_f32_e32 v20, v16, v20
	v_add_f32_e32 v21, v17, v21
	;; [unrolled: 1-line block ×4, first 2 shown]
	v_mul_f32_e32 v18, 0x3f4a47b2, v51
	v_mul_f32_e32 v19, 0x3f4a47b2, v53
	;; [unrolled: 1-line block ×8, first 2 shown]
	v_fmamk_f32 v26, v26, 0xbf955555, v16
	v_fmamk_f32 v27, v27, 0xbf955555, v17
	;; [unrolled: 1-line block ×4, first 2 shown]
	v_fma_f32 v32, 0x3f3bfb3b, v48, -v32
	v_fma_f32 v33, 0x3f3bfb3b, v50, -v33
	;; [unrolled: 1-line block ×4, first 2 shown]
	v_fmamk_f32 v48, v28, 0xbeae86e6, v51
	v_fmamk_f32 v50, v29, 0xbeae86e6, v53
	v_fma_f32 v51, 0xbf5ff5aa, v24, -v51
	v_fma_f32 v24, 0xbf5ff5aa, v25, -v53
	;; [unrolled: 1-line block ×4, first 2 shown]
	v_add_f32_e32 v53, v22, v26
	v_add_f32_e32 v55, v23, v27
	;; [unrolled: 1-line block ×5, first 2 shown]
	v_fmac_f32_e32 v48, 0xbee1c552, v20
	v_fmac_f32_e32 v51, 0xbee1c552, v20
	;; [unrolled: 1-line block ×4, first 2 shown]
	v_add_f32_e32 v27, v19, v27
	v_fmac_f32_e32 v50, 0xbee1c552, v21
	v_fmac_f32_e32 v28, 0xbee1c552, v20
	v_sub_f32_e32 v19, v55, v48
	v_add_f32_e32 v20, v29, v26
	v_sub_f32_e32 v22, v25, v24
	v_add_f32_e32 v23, v51, v32
	v_add_f32_e32 v24, v24, v25
	v_sub_f32_e32 v25, v32, v51
	v_sub_f32_e32 v26, v26, v29
	v_add_f32_e32 v29, v48, v55
	v_add_f32_e32 v32, v59, v45
	;; [unrolled: 1-line block ×3, first 2 shown]
	v_sub_f32_e32 v30, v30, v46
	v_add_f32_e32 v46, v31, v35
	v_add_f32_e32 v48, v54, v44
	;; [unrolled: 1-line block ×3, first 2 shown]
	v_sub_f32_e32 v21, v27, v28
	v_add_f32_e32 v27, v28, v27
	v_sub_f32_e32 v28, v53, v50
	v_sub_f32_e32 v31, v31, v35
	;; [unrolled: 1-line block ×3, first 2 shown]
	v_add_f32_e32 v44, v52, v49
	v_add_f32_e32 v50, v34, v47
	v_sub_f32_e32 v49, v49, v52
	v_sub_f32_e32 v34, v47, v34
	v_add_f32_e32 v47, v46, v32
	v_add_f32_e32 v51, v48, v33
	v_sub_f32_e32 v45, v59, v45
	v_sub_f32_e32 v52, v46, v32
	v_sub_f32_e32 v53, v48, v33
	v_sub_f32_e32 v32, v32, v44
	v_sub_f32_e32 v33, v33, v50
	v_sub_f32_e32 v46, v44, v46
	v_sub_f32_e32 v48, v50, v48
	v_add_f32_e32 v54, v49, v31
	v_add_f32_e32 v55, v34, v35
	v_sub_f32_e32 v56, v49, v31
	v_sub_f32_e32 v57, v34, v35
	v_add_f32_e32 v44, v44, v47
	v_add_f32_e32 v47, v50, v51
	v_sub_f32_e32 v31, v31, v45
	v_sub_f32_e32 v35, v35, v30
	;; [unrolled: 1-line block ×4, first 2 shown]
	v_add_f32_e32 v45, v54, v45
	v_add_f32_e32 v30, v55, v30
	;; [unrolled: 1-line block ×4, first 2 shown]
	v_mul_f32_e32 v32, 0x3f4a47b2, v32
	v_mul_f32_e32 v33, 0x3f4a47b2, v33
	;; [unrolled: 1-line block ×8, first 2 shown]
	v_fmamk_f32 v44, v44, 0xbf955555, v0
	v_fmamk_f32 v47, v47, 0xbf955555, v1
	;; [unrolled: 1-line block ×4, first 2 shown]
	v_fma_f32 v50, 0x3f3bfb3b, v52, -v50
	v_fma_f32 v51, 0x3f3bfb3b, v53, -v51
	;; [unrolled: 1-line block ×4, first 2 shown]
	v_fmamk_f32 v52, v49, 0xbeae86e6, v54
	v_fmamk_f32 v53, v34, 0xbeae86e6, v55
	v_fma_f32 v54, 0xbf5ff5aa, v31, -v54
	v_fma_f32 v55, 0xbf5ff5aa, v35, -v55
	;; [unrolled: 1-line block ×4, first 2 shown]
	v_add_f32_e32 v57, v46, v44
	v_add_f32_e32 v58, v48, v47
	v_fmac_f32_e32 v52, 0xbee1c552, v45
	v_fmac_f32_e32 v53, 0xbee1c552, v30
	v_add_f32_e32 v46, v50, v44
	v_add_f32_e32 v48, v51, v47
	;; [unrolled: 1-line block ×4, first 2 shown]
	v_fmac_f32_e32 v54, 0xbee1c552, v45
	v_fmac_f32_e32 v56, 0xbee1c552, v30
	;; [unrolled: 1-line block ×4, first 2 shown]
	v_add_f32_e32 v30, v53, v57
	v_sub_f32_e32 v31, v58, v52
	ds_write2_b64 v187, v[2:3], v[4:5] offset1:91
	ds_write2_b64 v43, v[6:7], v[8:9] offset0:54 offset1:145
	ds_write2_b64 v41, v[10:11], v[12:13] offset0:108 offset1:199
	;; [unrolled: 1-line block ×4, first 2 shown]
	v_add_nc_u32_e32 v2, 0x2400, v193
	v_add_f32_e32 v32, v56, v50
	v_sub_f32_e32 v33, v47, v49
	v_sub_f32_e32 v34, v46, v55
	v_add_f32_e32 v35, v54, v48
	v_add_nc_u32_e32 v3, 0x2c00, v193
	v_add_f32_e32 v44, v55, v46
	v_sub_f32_e32 v45, v48, v54
	v_sub_f32_e32 v46, v50, v56
	v_add_f32_e32 v47, v49, v47
	v_add_nc_u32_e32 v4, 0x3000, v193
	v_sub_f32_e32 v48, v57, v53
	v_add_f32_e32 v49, v52, v58
	ds_write2_b64 v96, v[22:23], v[24:25] offset0:142 offset1:233
	ds_write2_b64 v42, v[26:27], v[28:29] offset0:68 offset1:159
	;; [unrolled: 1-line block ×5, first 2 shown]
	ds_write_b64 v193, v[48:49] offset:14560
	s_waitcnt lgkmcnt(0)
	s_barrier
	buffer_gl0_inv
	ds_read2_b64 v[0:3], v40 offset0:34 offset1:125
	ds_read2_b64 v[4:7], v39 offset0:122 offset1:213
	;; [unrolled: 1-line block ×3, first 2 shown]
	ds_read2_b64 v[12:15], v187 offset1:91
	ds_read2_b64 v[16:19], v43 offset0:54 offset1:145
	ds_read2_b64 v[20:23], v38 offset0:48 offset1:139
	;; [unrolled: 1-line block ×6, first 2 shown]
	ds_read_b64 v[48:49], v187 offset:14560
	s_waitcnt lgkmcnt(10)
	v_mul_f32_e32 v50, v93, v3
	s_waitcnt lgkmcnt(9)
	v_mul_f32_e32 v52, v95, v5
	v_mul_f32_e32 v51, v93, v2
	v_mul_f32_e32 v53, v87, v7
	s_waitcnt lgkmcnt(8)
	v_mul_f32_e32 v54, v89, v11
	v_fmac_f32_e32 v50, v92, v2
	v_mul_f32_e32 v2, v95, v4
	v_fmac_f32_e32 v52, v94, v4
	v_mul_f32_e32 v4, v85, v8
	v_fma_f32 v3, v92, v3, -v51
	v_mul_f32_e32 v51, v85, v9
	v_fma_f32 v5, v94, v5, -v2
	v_mul_f32_e32 v2, v87, v6
	v_fma_f32 v9, v84, v9, -v4
	v_mul_f32_e32 v4, v89, v10
	s_waitcnt lgkmcnt(4)
	v_mul_f32_e32 v58, v77, v25
	v_mul_f32_e32 v56, v91, v21
	v_fma_f32 v55, v86, v7, -v2
	v_mul_f32_e32 v2, v91, v20
	v_fma_f32 v57, v88, v11, -v4
	v_mul_f32_e32 v4, v77, v24
	v_fmac_f32_e32 v58, v76, v24
	v_mul_f32_e32 v59, v79, v23
	v_fma_f32 v21, v90, v21, -v2
	v_mul_f32_e32 v2, v79, v22
	v_fma_f32 v24, v76, v25, -v4
	v_mul_f32_e32 v4, v69, v26
	v_mul_f32_e32 v60, v69, v27
	s_waitcnt lgkmcnt(1)
	v_mul_f32_e32 v62, v81, v45
	v_fma_f32 v23, v78, v23, -v2
	v_mul_f32_e32 v2, v71, v32
	v_fma_f32 v27, v68, v27, -v4
	v_mul_f32_e32 v4, v81, v44
	v_mul_f32_e32 v61, v71, v33
	v_fmac_f32_e32 v62, v80, v44
	v_fma_f32 v33, v70, v33, -v2
	v_mul_f32_e32 v2, v83, v34
	v_fma_f32 v44, v80, v45, -v4
	v_mul_f32_e32 v64, v73, v47
	v_mul_f32_e32 v4, v73, v46
	;; [unrolled: 1-line block ×3, first 2 shown]
	v_fma_f32 v35, v82, v35, -v2
	s_waitcnt lgkmcnt(0)
	v_mul_f32_e32 v2, v75, v48
	v_fmac_f32_e32 v64, v72, v46
	v_fma_f32 v46, v72, v47, -v4
	v_add_f32_e32 v4, v50, v52
	v_fmac_f32_e32 v51, v84, v8
	v_fmac_f32_e32 v53, v86, v6
	v_add_f32_e32 v6, v12, v50
	v_fma_f32 v47, v74, v49, -v2
	v_add_f32_e32 v7, v3, v5
	v_fma_f32 v2, -0.5, v4, v12
	v_sub_f32_e32 v8, v3, v5
	v_fmac_f32_e32 v54, v88, v10
	v_add_f32_e32 v4, v6, v52
	v_add_f32_e32 v10, v13, v3
	v_fma_f32 v3, -0.5, v7, v13
	v_sub_f32_e32 v11, v50, v52
	v_fmamk_f32 v6, v8, 0xbf5db3d7, v2
	v_fmac_f32_e32 v2, 0x3f5db3d7, v8
	v_add_f32_e32 v8, v51, v53
	v_fmac_f32_e32 v56, v90, v20
	v_add_f32_e32 v5, v10, v5
	v_fmamk_f32 v7, v11, 0x3f5db3d7, v3
	v_add_f32_e32 v10, v14, v51
	v_fmac_f32_e32 v3, 0xbf5db3d7, v11
	v_add_f32_e32 v11, v9, v55
	v_fma_f32 v14, -0.5, v8, v14
	v_sub_f32_e32 v12, v9, v55
	v_add_f32_e32 v8, v10, v53
	v_add_f32_e32 v9, v15, v9
	v_fmac_f32_e32 v15, -0.5, v11
	v_sub_f32_e32 v13, v51, v53
	v_fmamk_f32 v10, v12, 0xbf5db3d7, v14
	v_fmac_f32_e32 v14, 0x3f5db3d7, v12
	v_add_f32_e32 v12, v54, v56
	v_fmac_f32_e32 v59, v78, v22
	v_fmamk_f32 v11, v13, 0x3f5db3d7, v15
	v_add_f32_e32 v20, v16, v54
	v_fmac_f32_e32 v15, 0xbf5db3d7, v13
	v_add_f32_e32 v13, v57, v21
	v_fma_f32 v12, -0.5, v12, v16
	v_sub_f32_e32 v22, v57, v21
	v_fmac_f32_e32 v60, v68, v26
	v_add_f32_e32 v16, v20, v56
	v_add_f32_e32 v25, v17, v57
	v_fma_f32 v13, -0.5, v13, v17
	v_sub_f32_e32 v26, v54, v56
	v_fmamk_f32 v20, v22, 0xbf5db3d7, v12
	v_fmac_f32_e32 v12, 0x3f5db3d7, v22
	v_add_f32_e32 v22, v58, v59
	v_fmac_f32_e32 v61, v70, v32
	v_add_f32_e32 v17, v25, v21
	v_fmamk_f32 v21, v26, 0x3f5db3d7, v13
	v_add_f32_e32 v25, v18, v58
	v_fmac_f32_e32 v13, 0xbf5db3d7, v26
	v_add_f32_e32 v26, v24, v23
	v_fma_f32 v18, -0.5, v22, v18
	v_sub_f32_e32 v32, v24, v23
	v_fmac_f32_e32 v63, v82, v34
	v_mul_f32_e32 v65, v75, v49
	v_add_f32_e32 v22, v25, v59
	v_add_f32_e32 v25, v19, v24
	v_fmac_f32_e32 v19, -0.5, v26
	v_sub_f32_e32 v26, v58, v59
	v_fmamk_f32 v24, v32, 0xbf5db3d7, v18
	v_fmac_f32_e32 v18, 0x3f5db3d7, v32
	v_add_f32_e32 v32, v60, v61
	v_add_f32_e32 v34, v28, v60
	;; [unrolled: 1-line block ×3, first 2 shown]
	v_fmac_f32_e32 v65, v74, v48
	v_add_f32_e32 v23, v25, v23
	v_fmamk_f32 v25, v26, 0x3f5db3d7, v19
	v_fmac_f32_e32 v19, 0xbf5db3d7, v26
	v_fma_f32 v26, -0.5, v32, v28
	v_sub_f32_e32 v48, v27, v33
	v_add_f32_e32 v28, v34, v61
	v_add_f32_e32 v34, v29, v27
	v_fma_f32 v27, -0.5, v45, v29
	v_sub_f32_e32 v45, v60, v61
	v_fmamk_f32 v32, v48, 0xbf5db3d7, v26
	v_fmac_f32_e32 v26, 0x3f5db3d7, v48
	v_add_f32_e32 v29, v34, v33
	v_add_f32_e32 v34, v62, v63
	v_add_f32_e32 v48, v30, v62
	v_fmamk_f32 v33, v45, 0x3f5db3d7, v27
	v_fmac_f32_e32 v27, 0xbf5db3d7, v45
	v_add_f32_e32 v45, v44, v35
	v_fma_f32 v30, -0.5, v34, v30
	v_sub_f32_e32 v49, v44, v35
	v_add_f32_e32 v34, v48, v63
	v_add_f32_e32 v48, v31, v44
	v_fmac_f32_e32 v31, -0.5, v45
	v_sub_f32_e32 v50, v62, v63
	v_fmamk_f32 v44, v49, 0xbf5db3d7, v30
	v_fmac_f32_e32 v30, 0x3f5db3d7, v49
	v_add_f32_e32 v35, v48, v35
	v_add_f32_e32 v48, v64, v65
	;; [unrolled: 1-line block ×3, first 2 shown]
	v_fmamk_f32 v45, v50, 0x3f5db3d7, v31
	v_fmac_f32_e32 v31, 0xbf5db3d7, v50
	v_add_f32_e32 v50, v0, v64
	v_add_f32_e32 v52, v1, v46
	v_fma_f32 v0, -0.5, v48, v0
	v_sub_f32_e32 v51, v46, v47
	v_fmac_f32_e32 v1, -0.5, v49
	v_sub_f32_e32 v53, v64, v65
	v_add_f32_e32 v9, v9, v55
	v_add_f32_e32 v46, v50, v65
	;; [unrolled: 1-line block ×3, first 2 shown]
	v_fmamk_f32 v48, v51, 0xbf5db3d7, v0
	v_fmamk_f32 v49, v53, 0x3f5db3d7, v1
	v_add_nc_u32_e32 v50, 0x2800, v187
	v_fmac_f32_e32 v0, 0x3f5db3d7, v51
	v_fmac_f32_e32 v1, 0xbf5db3d7, v53
	ds_write_b64 v187, v[6:7] offset:5096
	ds_write_b64 v187, v[2:3] offset:10192
	ds_write2_b64 v187, v[4:5], v[8:9] offset1:91
	ds_write2_b64 v37, v[10:11], v[20:21] offset0:88 offset1:179
	ds_write2_b64 v50, v[14:15], v[12:13] offset0:85 offset1:176
	;; [unrolled: 1-line block ×4, first 2 shown]
	v_add_nc_u32_e32 v2, 0x3400, v187
	ds_write2_b64 v36, v[18:19], v[26:27] offset0:11 offset1:102
	ds_write2_b64 v41, v[28:29], v[34:35] offset0:108 offset1:199
	ds_write_b64 v187, v[46:47] offset:4368
	ds_write2_b64 v42, v[44:45], v[48:49] offset0:68 offset1:159
	ds_write2_b64 v2, v[30:31], v[0:1] offset0:65 offset1:156
	s_waitcnt lgkmcnt(0)
	s_barrier
	buffer_gl0_inv
	ds_read2_b64 v[0:3], v187 offset1:147
	v_mad_u64_u32 v[10:11], null, s10, v160, 0
	v_mad_u64_u32 v[14:15], null, s8, v188, 0
	s_waitcnt lgkmcnt(0)
	v_mul_f32_e32 v4, v172, v1
	v_mul_f32_e32 v5, v172, v0
	;; [unrolled: 1-line block ×4, first 2 shown]
	v_fmac_f32_e32 v4, v171, v0
	v_fma_f32 v5, v171, v1, -v5
	v_fmac_f32_e32 v16, v167, v2
	v_fma_f32 v2, v167, v3, -v17
	v_cvt_f64_f32_e32 v[0:1], v4
	v_cvt_f64_f32_e32 v[8:9], v5
	ds_read2_b64 v[4:7], v41 offset0:38 offset1:185
	v_cvt_f64_f32_e32 v[18:19], v2
	v_cvt_f64_f32_e32 v[16:17], v16
	v_mul_f64 v[12:13], v[0:1], s[4:5]
	s_waitcnt lgkmcnt(0)
	v_mul_f32_e32 v20, v180, v5
	v_mul_f32_e32 v3, v180, v4
	v_mul_f64 v[8:9], v[8:9], s[4:5]
	v_mul_f32_e32 v23, v178, v6
	v_fmac_f32_e32 v20, v179, v4
	v_fma_f32 v2, v179, v5, -v3
	v_cvt_f64_f32_e32 v[4:5], v20
	v_mad_u64_u32 v[0:1], null, s11, v160, v[11:12]
	v_mov_b32_e32 v1, v15
	v_cvt_f32_f64_e32 v12, v[12:13]
	v_cvt_f32_f64_e32 v13, v[8:9]
	v_mad_u64_u32 v[20:21], null, s9, v188, v[1:2]
	v_cvt_f64_f32_e32 v[21:22], v2
	v_mov_b32_e32 v11, v0
	ds_read2_b64 v[0:3], v40 offset0:76 offset1:223
	v_lshlrev_b64 v[10:11], 3, v[10:11]
	v_mov_b32_e32 v15, v20
	v_mul_f32_e32 v20, v178, v7
	v_add_co_u32 v24, s0, s2, v10
	v_add_co_ci_u32_e64 v25, s0, s3, v11, s0
	v_mul_f64 v[10:11], v[16:17], s[4:5]
	v_mul_f64 v[16:17], v[4:5], s[4:5]
	v_fmac_f32_e32 v20, v177, v6
	v_fma_f32 v4, v177, v7, -v23
	v_lshlrev_b64 v[8:9], 3, v[14:15]
	v_mul_f64 v[14:15], v[18:19], s[4:5]
	s_waitcnt lgkmcnt(0)
	v_mul_f32_e32 v6, v176, v0
	v_mul_f64 v[18:19], v[21:22], s[4:5]
	v_mul_f32_e32 v5, v176, v1
	v_cvt_f64_f32_e32 v[22:23], v4
	v_cvt_f64_f32_e32 v[20:21], v20
	v_fma_f32 v4, v175, v1, -v6
	v_fmac_f32_e32 v5, v175, v0
	v_add_co_u32 v0, s0, v24, v8
	v_add_co_ci_u32_e64 v1, s0, v25, v9, s0
	v_cvt_f64_f32_e32 v[24:25], v4
	v_add_nc_u32_e32 v4, 0x1a00, v187
	v_cvt_f64_f32_e32 v[8:9], v5
	global_store_dwordx2 v[0:1], v[12:13], off
	v_cvt_f32_f64_e32 v10, v[10:11]
	v_cvt_f32_f64_e32 v12, v[16:17]
	ds_read2_b64 v[4:7], v4 offset0:50 offset1:197
	s_mul_i32 s0, s9, 0x93
	v_cvt_f32_f64_e32 v11, v[14:15]
	s_add_i32 s1, s1, s0
	v_cvt_f32_f64_e32 v13, v[18:19]
	s_mul_i32 s0, s8, 0x93
	v_mul_f64 v[16:17], v[22:23], s[4:5]
	v_mul_f32_e32 v22, v170, v3
	s_lshl_b64 s[2:3], s[0:1], 3
	v_mul_f64 v[14:15], v[20:21], s[4:5]
	v_add_co_u32 v0, s0, v0, s2
	v_add_co_ci_u32_e64 v1, s0, s3, v1, s0
	v_fmac_f32_e32 v22, v169, v2
	v_mul_f64 v[18:19], v[24:25], s[4:5]
	v_mul_f32_e32 v2, v170, v2
	v_mul_f64 v[8:9], v[8:9], s[4:5]
	v_add_co_u32 v20, s0, v0, s2
	s_waitcnt lgkmcnt(0)
	v_mul_f32_e32 v24, v174, v5
	v_mul_f32_e32 v25, v174, v4
	v_add_co_ci_u32_e64 v21, s0, s3, v1, s0
	v_fma_f32 v2, v169, v3, -v2
	v_fmac_f32_e32 v24, v173, v4
	v_fma_f32 v3, v173, v5, -v25
	global_store_dwordx2 v[0:1], v[10:11], off
	global_store_dwordx2 v[20:21], v[12:13], off
	v_mul_f32_e32 v26, v166, v7
	v_cvt_f64_f32_e32 v[12:13], v24
	v_cvt_f64_f32_e32 v[24:25], v3
	;; [unrolled: 1-line block ×3, first 2 shown]
	ds_read2_b64 v[0:3], v39 offset0:24 offset1:171
	v_cvt_f32_f64_e32 v14, v[14:15]
	v_cvt_f32_f64_e32 v15, v[16:17]
	v_add_co_u32 v16, s0, v20, s2
	v_mul_f32_e32 v27, v166, v6
	v_cvt_f32_f64_e32 v20, v[8:9]
	ds_read2_b64 v[8:11], v38 offset0:62 offset1:209
	v_fmac_f32_e32 v26, v165, v6
	v_cvt_f64_f32_e32 v[22:23], v22
	v_fma_f32 v28, v165, v7, -v27
	v_add_co_ci_u32_e64 v17, s0, s3, v21, s0
	v_cvt_f32_f64_e32 v21, v[18:19]
	v_add_co_u32 v18, s0, v16, s2
	v_cvt_f64_f32_e32 v[28:29], v28
	v_add_co_ci_u32_e64 v19, s0, s3, v17, s0
	v_mul_f64 v[6:7], v[12:13], s[4:5]
	v_mul_f64 v[12:13], v[24:25], s[4:5]
	v_cvt_f64_f32_e32 v[24:25], v26
	ds_read_b64 v[26:27], v187 offset:14112
	s_waitcnt lgkmcnt(2)
	v_mul_f32_e32 v31, v159, v0
	v_mul_f64 v[4:5], v[4:5], s[4:5]
	v_mul_f32_e32 v30, v159, v1
	v_mul_f32_e32 v32, v157, v3
	s_waitcnt lgkmcnt(1)
	v_mul_f32_e32 v34, v155, v9
	v_mul_f32_e32 v33, v157, v2
	v_fma_f32 v31, v158, v1, -v31
	v_mul_f32_e32 v38, v162, v11
	v_mul_f32_e32 v39, v162, v10
	v_fmac_f32_e32 v34, v154, v8
	v_mul_f32_e32 v8, v155, v8
	v_fmac_f32_e32 v30, v158, v0
	v_fmac_f32_e32 v32, v156, v2
	v_fma_f32 v33, v156, v3, -v33
	v_cvt_f64_f32_e32 v[2:3], v31
	v_fma_f32 v8, v154, v9, -v8
	v_fmac_f32_e32 v38, v161, v10
	v_fma_f32 v39, v161, v11, -v39
	v_mul_f64 v[22:23], v[22:23], s[4:5]
	s_waitcnt lgkmcnt(0)
	v_mul_f32_e32 v40, v164, v27
	v_mul_f32_e32 v41, v164, v26
	v_cvt_f64_f32_e32 v[0:1], v30
	v_cvt_f64_f32_e32 v[30:31], v32
	;; [unrolled: 1-line block ×3, first 2 shown]
	v_fmac_f32_e32 v40, v163, v26
	v_fma_f32 v41, v163, v27, -v41
	v_cvt_f64_f32_e32 v[34:35], v34
	v_cvt_f64_f32_e32 v[8:9], v8
	;; [unrolled: 1-line block ×6, first 2 shown]
	global_store_dwordx2 v[16:17], v[14:15], off
	global_store_dwordx2 v[18:19], v[20:21], off
	v_cvt_f32_f64_e32 v15, v[4:5]
	v_mul_f64 v[4:5], v[24:25], s[4:5]
	v_mul_f64 v[16:17], v[28:29], s[4:5]
	;; [unrolled: 1-line block ×3, first 2 shown]
	v_cvt_f32_f64_e32 v6, v[6:7]
	v_cvt_f32_f64_e32 v7, v[12:13]
	v_add_co_u32 v18, s0, v18, s2
	v_cvt_f32_f64_e32 v14, v[22:23]
	v_add_co_ci_u32_e64 v19, s0, s3, v19, s0
	v_mul_f64 v[0:1], v[0:1], s[4:5]
	v_mul_f64 v[12:13], v[30:31], s[4:5]
	;; [unrolled: 1-line block ×3, first 2 shown]
	v_add_co_u32 v30, s0, v18, s2
	v_mul_f64 v[22:23], v[34:35], s[4:5]
	v_mul_f64 v[8:9], v[8:9], s[4:5]
	;; [unrolled: 1-line block ×6, first 2 shown]
	v_add_co_ci_u32_e64 v31, s0, s3, v19, s0
	v_cvt_f32_f64_e32 v4, v[4:5]
	v_cvt_f32_f64_e32 v5, v[16:17]
	v_add_co_u32 v16, s0, v30, s2
	v_add_co_ci_u32_e64 v17, s0, s3, v31, s0
	v_cvt_f32_f64_e32 v33, v[2:3]
	v_add_co_u32 v2, s0, v16, s2
	v_add_co_ci_u32_e64 v3, s0, s3, v17, s0
	v_cvt_f32_f64_e32 v32, v[0:1]
	v_cvt_f32_f64_e32 v12, v[12:13]
	;; [unrolled: 1-line block ×4, first 2 shown]
	v_add_co_u32 v22, s0, v2, s2
	v_cvt_f32_f64_e32 v21, v[8:9]
	v_add_co_ci_u32_e64 v23, s0, s3, v3, s0
	v_cvt_f32_f64_e32 v8, v[10:11]
	v_cvt_f32_f64_e32 v9, v[24:25]
	;; [unrolled: 1-line block ×4, first 2 shown]
	global_store_dwordx2 v[18:19], v[14:15], off
	v_add_co_u32 v14, s0, v22, s2
	v_add_co_ci_u32_e64 v15, s0, s3, v23, s0
	global_store_dwordx2 v[30:31], v[6:7], off
	v_add_co_u32 v6, s0, v14, s2
	v_add_co_ci_u32_e64 v7, s0, s3, v15, s0
	;; [unrolled: 3-line block ×3, first 2 shown]
	global_store_dwordx2 v[2:3], v[32:33], off
	global_store_dwordx2 v[22:23], v[12:13], off
	;; [unrolled: 1-line block ×5, first 2 shown]
	s_and_b32 exec_lo, exec_lo, vcc_lo
	s_cbranch_execz .LBB0_15
; %bb.14:
	global_load_dwordx2 v[6:7], v[150:151], off offset:728
	ds_read2_b64 v[2:5], v187 offset0:91 offset1:238
	v_mad_u64_u32 v[0:1], null, 0xffffcbb8, s8, v[0:1]
	s_mul_i32 s0, s9, 0xffffcbb8
	s_sub_i32 s0, s0, s8
	v_add_nc_u32_e32 v1, s0, v1
	s_waitcnt vmcnt(0) lgkmcnt(0)
	v_mul_f32_e32 v8, v3, v7
	v_mul_f32_e32 v7, v2, v7
	v_fmac_f32_e32 v8, v2, v6
	v_fma_f32 v6, v6, v3, -v7
	v_cvt_f64_f32_e32 v[2:3], v8
	v_cvt_f64_f32_e32 v[6:7], v6
	v_mul_f64 v[2:3], v[2:3], s[4:5]
	v_mul_f64 v[6:7], v[6:7], s[4:5]
	v_cvt_f32_f64_e32 v2, v[2:3]
	v_cvt_f32_f64_e32 v3, v[6:7]
	global_store_dwordx2 v[0:1], v[2:3], off
	global_load_dwordx2 v[2:3], v[150:151], off offset:1904
	s_waitcnt vmcnt(0)
	v_mul_f32_e32 v6, v5, v3
	v_mul_f32_e32 v3, v4, v3
	v_fmac_f32_e32 v6, v4, v2
	v_fma_f32 v4, v2, v5, -v3
	v_cvt_f64_f32_e32 v[2:3], v6
	v_cvt_f64_f32_e32 v[4:5], v4
	v_mul_f64 v[2:3], v[2:3], s[4:5]
	v_mul_f64 v[4:5], v[4:5], s[4:5]
	v_cvt_f32_f64_e32 v2, v[2:3]
	v_cvt_f32_f64_e32 v3, v[4:5]
	v_add_co_u32 v4, vcc_lo, v0, s2
	v_add_co_ci_u32_e32 v5, vcc_lo, s3, v1, vcc_lo
	v_add_nc_u32_e32 v0, 0xc00, v187
	global_store_dwordx2 v[4:5], v[2:3], off
	global_load_dwordx2 v[6:7], v[152:153], off offset:1032
	ds_read2_b64 v[0:3], v0 offset0:1 offset1:148
	v_add_co_u32 v4, vcc_lo, v4, s2
	v_add_co_ci_u32_e32 v5, vcc_lo, s3, v5, vcc_lo
	s_waitcnt vmcnt(0) lgkmcnt(0)
	v_mul_f32_e32 v8, v1, v7
	v_mul_f32_e32 v7, v0, v7
	v_fmac_f32_e32 v8, v0, v6
	v_fma_f32 v6, v6, v1, -v7
	v_cvt_f64_f32_e32 v[0:1], v8
	v_cvt_f64_f32_e32 v[6:7], v6
	v_mul_f64 v[0:1], v[0:1], s[4:5]
	v_mul_f64 v[6:7], v[6:7], s[4:5]
	v_cvt_f32_f64_e32 v0, v[0:1]
	v_cvt_f32_f64_e32 v1, v[6:7]
	global_store_dwordx2 v[4:5], v[0:1], off
	global_load_dwordx2 v[0:1], v[148:149], off offset:160
	v_add_co_u32 v4, vcc_lo, v4, s2
	v_add_co_ci_u32_e32 v5, vcc_lo, s3, v5, vcc_lo
	s_waitcnt vmcnt(0)
	v_mul_f32_e32 v6, v3, v1
	v_mul_f32_e32 v1, v2, v1
	v_fmac_f32_e32 v6, v2, v0
	v_fma_f32 v2, v0, v3, -v1
	v_cvt_f64_f32_e32 v[0:1], v6
	v_cvt_f64_f32_e32 v[2:3], v2
	v_mul_f64 v[0:1], v[0:1], s[4:5]
	v_mul_f64 v[2:3], v[2:3], s[4:5]
	v_cvt_f32_f64_e32 v0, v[0:1]
	v_cvt_f32_f64_e32 v1, v[2:3]
	global_store_dwordx2 v[4:5], v[0:1], off
	global_load_dwordx2 v[6:7], v[148:149], off offset:1336
	ds_read2_b64 v[0:3], v37 offset0:39 offset1:186
	v_add_co_u32 v4, vcc_lo, v4, s2
	v_add_co_ci_u32_e32 v5, vcc_lo, s3, v5, vcc_lo
	s_waitcnt vmcnt(0) lgkmcnt(0)
	v_mul_f32_e32 v8, v1, v7
	v_mul_f32_e32 v7, v0, v7
	v_fmac_f32_e32 v8, v0, v6
	v_fma_f32 v6, v6, v1, -v7
	v_cvt_f64_f32_e32 v[0:1], v8
	v_cvt_f64_f32_e32 v[6:7], v6
	v_mul_f64 v[0:1], v[0:1], s[4:5]
	v_mul_f64 v[6:7], v[6:7], s[4:5]
	v_cvt_f32_f64_e32 v0, v[0:1]
	v_cvt_f32_f64_e32 v1, v[6:7]
	global_store_dwordx2 v[4:5], v[0:1], off
	global_load_dwordx2 v[0:1], v[146:147], off offset:464
	v_add_co_u32 v4, vcc_lo, v4, s2
	v_add_co_ci_u32_e32 v5, vcc_lo, s3, v5, vcc_lo
	s_waitcnt vmcnt(0)
	v_mul_f32_e32 v6, v3, v1
	v_mul_f32_e32 v1, v2, v1
	v_fmac_f32_e32 v6, v2, v0
	v_fma_f32 v2, v0, v3, -v1
	v_cvt_f64_f32_e32 v[0:1], v6
	v_cvt_f64_f32_e32 v[2:3], v2
	v_mul_f64 v[0:1], v[0:1], s[4:5]
	v_mul_f64 v[2:3], v[2:3], s[4:5]
	v_cvt_f32_f64_e32 v0, v[0:1]
	v_cvt_f32_f64_e32 v1, v[2:3]
	global_store_dwordx2 v[4:5], v[0:1], off
	global_load_dwordx2 v[6:7], v[146:147], off offset:1640
	v_add_nc_u32_e32 v0, 0x1c00, v187
	v_add_co_u32 v4, vcc_lo, v4, s2
	v_add_co_ci_u32_e32 v5, vcc_lo, s3, v5, vcc_lo
	ds_read2_b64 v[0:3], v0 offset0:77 offset1:224
	s_waitcnt vmcnt(0) lgkmcnt(0)
	v_mul_f32_e32 v8, v1, v7
	v_mul_f32_e32 v7, v0, v7
	v_fmac_f32_e32 v8, v0, v6
	v_fma_f32 v6, v6, v1, -v7
	v_cvt_f64_f32_e32 v[0:1], v8
	v_cvt_f64_f32_e32 v[6:7], v6
	v_mul_f64 v[0:1], v[0:1], s[4:5]
	v_mul_f64 v[6:7], v[6:7], s[4:5]
	v_cvt_f32_f64_e32 v0, v[0:1]
	v_cvt_f32_f64_e32 v1, v[6:7]
	global_store_dwordx2 v[4:5], v[0:1], off
	global_load_dwordx2 v[0:1], v[142:143], off offset:768
	v_add_co_u32 v4, vcc_lo, v4, s2
	v_add_co_ci_u32_e32 v5, vcc_lo, s3, v5, vcc_lo
	s_waitcnt vmcnt(0)
	v_mul_f32_e32 v6, v3, v1
	v_mul_f32_e32 v1, v2, v1
	v_fmac_f32_e32 v6, v2, v0
	v_fma_f32 v2, v0, v3, -v1
	v_cvt_f64_f32_e32 v[0:1], v6
	v_cvt_f64_f32_e32 v[2:3], v2
	v_mul_f64 v[0:1], v[0:1], s[4:5]
	v_mul_f64 v[2:3], v[2:3], s[4:5]
	v_cvt_f32_f64_e32 v0, v[0:1]
	v_cvt_f32_f64_e32 v1, v[2:3]
	global_store_dwordx2 v[4:5], v[0:1], off
	global_load_dwordx2 v[6:7], v[142:143], off offset:1944
	v_add_nc_u32_e32 v0, 0x2600, v187
	v_add_co_u32 v4, vcc_lo, v4, s2
	v_add_co_ci_u32_e32 v5, vcc_lo, s3, v5, vcc_lo
	ds_read2_b64 v[0:3], v0 offset0:51 offset1:198
	s_waitcnt vmcnt(0) lgkmcnt(0)
	v_mul_f32_e32 v8, v1, v7
	v_mul_f32_e32 v7, v0, v7
	v_fmac_f32_e32 v8, v0, v6
	v_fma_f32 v6, v6, v1, -v7
	v_cvt_f64_f32_e32 v[0:1], v8
	v_cvt_f64_f32_e32 v[6:7], v6
	v_mul_f64 v[0:1], v[0:1], s[4:5]
	v_mul_f64 v[6:7], v[6:7], s[4:5]
	v_cvt_f32_f64_e32 v0, v[0:1]
	v_cvt_f32_f64_e32 v1, v[6:7]
	global_store_dwordx2 v[4:5], v[0:1], off
	global_load_dwordx2 v[0:1], v[144:145], off offset:1072
	v_add_co_u32 v4, vcc_lo, v4, s2
	v_add_co_ci_u32_e32 v5, vcc_lo, s3, v5, vcc_lo
	s_waitcnt vmcnt(0)
	v_mul_f32_e32 v6, v3, v1
	v_mul_f32_e32 v1, v2, v1
	v_fmac_f32_e32 v6, v2, v0
	v_fma_f32 v2, v0, v3, -v1
	v_cvt_f64_f32_e32 v[0:1], v6
	v_cvt_f64_f32_e32 v[2:3], v2
	v_mul_f64 v[0:1], v[0:1], s[4:5]
	v_mul_f64 v[2:3], v[2:3], s[4:5]
	v_cvt_f32_f64_e32 v0, v[0:1]
	v_cvt_f32_f64_e32 v1, v[2:3]
	global_store_dwordx2 v[4:5], v[0:1], off
	global_load_dwordx2 v[6:7], v[140:141], off offset:200
	ds_read2_b64 v[0:3], v36 offset0:25 offset1:172
	v_add_co_u32 v4, vcc_lo, v4, s2
	v_add_co_ci_u32_e32 v5, vcc_lo, s3, v5, vcc_lo
	s_waitcnt vmcnt(0) lgkmcnt(0)
	v_mul_f32_e32 v8, v1, v7
	v_mul_f32_e32 v7, v0, v7
	v_fmac_f32_e32 v8, v0, v6
	v_fma_f32 v6, v6, v1, -v7
	v_cvt_f64_f32_e32 v[0:1], v8
	v_cvt_f64_f32_e32 v[6:7], v6
	v_mul_f64 v[0:1], v[0:1], s[4:5]
	v_mul_f64 v[6:7], v[6:7], s[4:5]
	v_cvt_f32_f64_e32 v0, v[0:1]
	v_cvt_f32_f64_e32 v1, v[6:7]
	global_store_dwordx2 v[4:5], v[0:1], off
	global_load_dwordx2 v[0:1], v[140:141], off offset:1376
	s_waitcnt vmcnt(0)
	v_mul_f32_e32 v6, v3, v1
	v_mul_f32_e32 v1, v2, v1
	v_fmac_f32_e32 v6, v2, v0
	v_fma_f32 v2, v0, v3, -v1
	v_cvt_f64_f32_e32 v[0:1], v6
	v_cvt_f64_f32_e32 v[2:3], v2
	v_mul_f64 v[0:1], v[0:1], s[4:5]
	v_mul_f64 v[2:3], v[2:3], s[4:5]
	v_cvt_f32_f64_e32 v0, v[0:1]
	v_cvt_f32_f64_e32 v1, v[2:3]
	v_add_co_u32 v2, vcc_lo, v4, s2
	v_add_co_ci_u32_e32 v3, vcc_lo, s3, v5, vcc_lo
	ds_read_b64 v[4:5], v187 offset:14840
	global_store_dwordx2 v[2:3], v[0:1], off
	global_load_dwordx2 v[0:1], v[183:184], off offset:504
	v_add_co_u32 v2, vcc_lo, v2, s2
	v_add_co_ci_u32_e32 v3, vcc_lo, s3, v3, vcc_lo
	s_waitcnt vmcnt(0) lgkmcnt(0)
	v_mul_f32_e32 v6, v5, v1
	v_mul_f32_e32 v1, v4, v1
	v_fmac_f32_e32 v6, v4, v0
	v_fma_f32 v4, v0, v5, -v1
	v_cvt_f64_f32_e32 v[0:1], v6
	v_cvt_f64_f32_e32 v[4:5], v4
	v_mul_f64 v[0:1], v[0:1], s[4:5]
	v_mul_f64 v[4:5], v[4:5], s[4:5]
	v_cvt_f32_f64_e32 v0, v[0:1]
	v_cvt_f32_f64_e32 v1, v[4:5]
	global_store_dwordx2 v[2:3], v[0:1], off
.LBB0_15:
	s_endpgm
	.section	.rodata,"a",@progbits
	.p2align	6, 0x0
	.amdhsa_kernel bluestein_single_back_len1911_dim1_sp_op_CI_CI
		.amdhsa_group_segment_fixed_size 15288
		.amdhsa_private_segment_fixed_size 0
		.amdhsa_kernarg_size 104
		.amdhsa_user_sgpr_count 6
		.amdhsa_user_sgpr_private_segment_buffer 1
		.amdhsa_user_sgpr_dispatch_ptr 0
		.amdhsa_user_sgpr_queue_ptr 0
		.amdhsa_user_sgpr_kernarg_segment_ptr 1
		.amdhsa_user_sgpr_dispatch_id 0
		.amdhsa_user_sgpr_flat_scratch_init 0
		.amdhsa_user_sgpr_private_segment_size 0
		.amdhsa_wavefront_size32 1
		.amdhsa_uses_dynamic_stack 0
		.amdhsa_system_sgpr_private_segment_wavefront_offset 0
		.amdhsa_system_sgpr_workgroup_id_x 1
		.amdhsa_system_sgpr_workgroup_id_y 0
		.amdhsa_system_sgpr_workgroup_id_z 0
		.amdhsa_system_sgpr_workgroup_info 0
		.amdhsa_system_vgpr_workitem_id 0
		.amdhsa_next_free_vgpr 241
		.amdhsa_next_free_sgpr 16
		.amdhsa_reserve_vcc 1
		.amdhsa_reserve_flat_scratch 0
		.amdhsa_float_round_mode_32 0
		.amdhsa_float_round_mode_16_64 0
		.amdhsa_float_denorm_mode_32 3
		.amdhsa_float_denorm_mode_16_64 3
		.amdhsa_dx10_clamp 1
		.amdhsa_ieee_mode 1
		.amdhsa_fp16_overflow 0
		.amdhsa_workgroup_processor_mode 1
		.amdhsa_memory_ordered 1
		.amdhsa_forward_progress 0
		.amdhsa_shared_vgpr_count 0
		.amdhsa_exception_fp_ieee_invalid_op 0
		.amdhsa_exception_fp_denorm_src 0
		.amdhsa_exception_fp_ieee_div_zero 0
		.amdhsa_exception_fp_ieee_overflow 0
		.amdhsa_exception_fp_ieee_underflow 0
		.amdhsa_exception_fp_ieee_inexact 0
		.amdhsa_exception_int_div_zero 0
	.end_amdhsa_kernel
	.text
.Lfunc_end0:
	.size	bluestein_single_back_len1911_dim1_sp_op_CI_CI, .Lfunc_end0-bluestein_single_back_len1911_dim1_sp_op_CI_CI
                                        ; -- End function
	.section	.AMDGPU.csdata,"",@progbits
; Kernel info:
; codeLenInByte = 28668
; NumSgprs: 18
; NumVgprs: 241
; ScratchSize: 0
; MemoryBound: 0
; FloatMode: 240
; IeeeMode: 1
; LDSByteSize: 15288 bytes/workgroup (compile time only)
; SGPRBlocks: 2
; VGPRBlocks: 30
; NumSGPRsForWavesPerEU: 18
; NumVGPRsForWavesPerEU: 241
; Occupancy: 4
; WaveLimiterHint : 1
; COMPUTE_PGM_RSRC2:SCRATCH_EN: 0
; COMPUTE_PGM_RSRC2:USER_SGPR: 6
; COMPUTE_PGM_RSRC2:TRAP_HANDLER: 0
; COMPUTE_PGM_RSRC2:TGID_X_EN: 1
; COMPUTE_PGM_RSRC2:TGID_Y_EN: 0
; COMPUTE_PGM_RSRC2:TGID_Z_EN: 0
; COMPUTE_PGM_RSRC2:TIDIG_COMP_CNT: 0
	.text
	.p2alignl 6, 3214868480
	.fill 48, 4, 3214868480
	.type	__hip_cuid_7f4419b243302950,@object ; @__hip_cuid_7f4419b243302950
	.section	.bss,"aw",@nobits
	.globl	__hip_cuid_7f4419b243302950
__hip_cuid_7f4419b243302950:
	.byte	0                               ; 0x0
	.size	__hip_cuid_7f4419b243302950, 1

	.ident	"AMD clang version 19.0.0git (https://github.com/RadeonOpenCompute/llvm-project roc-6.4.0 25133 c7fe45cf4b819c5991fe208aaa96edf142730f1d)"
	.section	".note.GNU-stack","",@progbits
	.addrsig
	.addrsig_sym __hip_cuid_7f4419b243302950
	.amdgpu_metadata
---
amdhsa.kernels:
  - .args:
      - .actual_access:  read_only
        .address_space:  global
        .offset:         0
        .size:           8
        .value_kind:     global_buffer
      - .actual_access:  read_only
        .address_space:  global
        .offset:         8
        .size:           8
        .value_kind:     global_buffer
      - .actual_access:  read_only
        .address_space:  global
        .offset:         16
        .size:           8
        .value_kind:     global_buffer
      - .actual_access:  read_only
        .address_space:  global
        .offset:         24
        .size:           8
        .value_kind:     global_buffer
      - .actual_access:  read_only
        .address_space:  global
        .offset:         32
        .size:           8
        .value_kind:     global_buffer
      - .offset:         40
        .size:           8
        .value_kind:     by_value
      - .address_space:  global
        .offset:         48
        .size:           8
        .value_kind:     global_buffer
      - .address_space:  global
        .offset:         56
        .size:           8
        .value_kind:     global_buffer
      - .address_space:  global
        .offset:         64
        .size:           8
        .value_kind:     global_buffer
      - .address_space:  global
        .offset:         72
        .size:           8
        .value_kind:     global_buffer
      - .offset:         80
        .size:           4
        .value_kind:     by_value
      - .address_space:  global
        .offset:         88
        .size:           8
        .value_kind:     global_buffer
      - .address_space:  global
        .offset:         96
        .size:           8
        .value_kind:     global_buffer
    .group_segment_fixed_size: 15288
    .kernarg_segment_align: 8
    .kernarg_segment_size: 104
    .language:       OpenCL C
    .language_version:
      - 2
      - 0
    .max_flat_workgroup_size: 91
    .name:           bluestein_single_back_len1911_dim1_sp_op_CI_CI
    .private_segment_fixed_size: 0
    .sgpr_count:     18
    .sgpr_spill_count: 0
    .symbol:         bluestein_single_back_len1911_dim1_sp_op_CI_CI.kd
    .uniform_work_group_size: 1
    .uses_dynamic_stack: false
    .vgpr_count:     241
    .vgpr_spill_count: 0
    .wavefront_size: 32
    .workgroup_processor_mode: 1
amdhsa.target:   amdgcn-amd-amdhsa--gfx1030
amdhsa.version:
  - 1
  - 2
...

	.end_amdgpu_metadata
